;; amdgpu-corpus repo=ROCm/rocFFT kind=compiled arch=gfx950 opt=O3
	.text
	.amdgcn_target "amdgcn-amd-amdhsa--gfx950"
	.amdhsa_code_object_version 6
	.protected	bluestein_single_fwd_len450_dim1_dp_op_CI_CI ; -- Begin function bluestein_single_fwd_len450_dim1_dp_op_CI_CI
	.globl	bluestein_single_fwd_len450_dim1_dp_op_CI_CI
	.p2align	8
	.type	bluestein_single_fwd_len450_dim1_dp_op_CI_CI,@function
bluestein_single_fwd_len450_dim1_dp_op_CI_CI: ; @bluestein_single_fwd_len450_dim1_dp_op_CI_CI
; %bb.0:
	s_load_dwordx4 s[12:15], s[0:1], 0x28
	v_mul_u32_u24_e32 v1, 0x889, v0
	v_lshrrev_b32_e32 v1, 16, v1
	v_mov_b32_e32 v251, 0
	v_lshl_add_u32 v252, s2, 2, v1
	v_mov_b32_e32 v253, v251
	s_waitcnt lgkmcnt(0)
	v_cmp_gt_u64_e32 vcc, s[12:13], v[252:253]
	s_and_saveexec_b64 s[2:3], vcc
	s_cbranch_execz .LBB0_15
; %bb.1:
	s_load_dwordx4 s[4:7], s[0:1], 0x18
	s_load_dwordx2 s[18:19], s[0:1], 0x0
	v_mul_lo_u16_e32 v4, 30, v1
	v_sub_u16_e32 v250, v0, v4
	v_mov_b32_e32 v2, s14
	s_waitcnt lgkmcnt(0)
	s_load_dwordx4 s[8:11], s[4:5], 0x0
	v_mov_b32_e32 v3, s15
	v_lshlrev_b32_e32 v42, 4, v250
	v_mov_b32_e32 v43, v251
	v_lshl_add_u64 v[248:249], s[18:19], 0, v[42:43]
	s_waitcnt lgkmcnt(0)
	v_mad_u64_u32 v[4:5], s[2:3], s10, v252, 0
	v_mov_b32_e32 v0, v5
	v_mad_u64_u32 v[6:7], s[2:3], s11, v252, v[0:1]
	v_mov_b32_e32 v5, v6
	;; [unrolled: 2-line block ×3, first 2 shown]
	v_mad_u64_u32 v[8:9], s[2:3], s9, v250, v[0:1]
	s_mul_i32 s2, s9, 45
	s_mul_hi_u32 s3, s8, 45
	v_mov_b32_e32 v7, v8
	v_lshl_add_u64 v[2:3], v[4:5], 4, v[2:3]
	s_add_i32 s3, s3, s2
	s_mul_i32 s2, s8, 45
	v_lshl_add_u64 v[2:3], v[6:7], 4, v[2:3]
	s_lshl_b64 s[10:11], s[2:3], 4
	global_load_dwordx4 v[4:7], v42, s[18:19]
	global_load_dwordx4 v[46:49], v[2:3], off
	v_lshl_add_u64 v[2:3], v[2:3], 0, s[10:11]
	global_load_dwordx4 v[50:53], v[2:3], off
	global_load_dwordx4 v[86:89], v42, s[18:19] offset:720
	v_lshl_add_u64 v[2:3], v[2:3], 0, s[10:11]
	global_load_dwordx4 v[8:11], v42, s[18:19] offset:1440
	global_load_dwordx4 v[54:57], v[2:3], off
	v_lshl_add_u64 v[2:3], v[2:3], 0, s[10:11]
	global_load_dwordx4 v[58:61], v[2:3], off
	global_load_dwordx4 v[24:27], v42, s[18:19] offset:2160
	v_lshl_add_u64 v[2:3], v[2:3], 0, s[10:11]
	s_movk_i32 s2, 0x1000
	global_load_dwordx4 v[62:65], v[2:3], off
	v_lshl_add_u64 v[2:3], v[2:3], 0, s[10:11]
	v_add_co_u32_e32 v40, vcc, s2, v248
	global_load_dwordx4 v[36:39], v42, s[18:19] offset:2880
	global_load_dwordx4 v[66:69], v[2:3], off
	global_load_dwordx4 v[20:23], v42, s[18:19] offset:3600
	v_lshl_add_u64 v[2:3], v[2:3], 0, s[10:11]
	v_addc_co_u32_e32 v41, vcc, 0, v249, vcc
	global_load_dwordx4 v[70:73], v[2:3], off
	global_load_dwordx4 v[16:19], v[40:41], off offset:224
	v_lshl_add_u64 v[2:3], v[2:3], 0, s[10:11]
	global_load_dwordx4 v[74:77], v[2:3], off
	global_load_dwordx4 v[32:35], v[40:41], off offset:944
	v_lshl_add_u64 v[2:3], v[2:3], 0, s[10:11]
	;; [unrolled: 3-line block ×3, first 2 shown]
	global_load_dwordx4 v[28:31], v[40:41], off offset:2384
	global_load_dwordx4 v[82:85], v[44:45], off
	v_and_b32_e32 v0, 3, v1
	v_mul_u32_u24_e32 v0, 0x1c2, v0
	v_lshlrev_b32_e32 v186, 4, v0
	v_add_u32_e32 v253, v186, v42
	s_load_dwordx2 s[2:3], s[0:1], 0x38
	v_cmp_gt_u16_e32 vcc, 15, v250
	s_load_dwordx4 s[4:7], s[6:7], 0x0
	s_waitcnt vmcnt(19)
	v_accvgpr_write_b32 a0, v4
	s_waitcnt vmcnt(18)
	v_mul_f64 v[0:1], v[48:49], v[6:7]
	v_mul_f64 v[2:3], v[46:47], v[6:7]
	v_fmac_f64_e32 v[0:1], v[46:47], v[4:5]
	v_fma_f64 v[2:3], v[48:49], v[4:5], -v[2:3]
	ds_write_b128 v253, v[0:3]
	s_waitcnt vmcnt(14)
	v_mul_f64 v[0:1], v[56:57], v[10:11]
	v_mul_f64 v[2:3], v[54:55], v[10:11]
	v_accvgpr_write_b32 a1, v5
	v_accvgpr_write_b32 a2, v6
	;; [unrolled: 1-line block ×3, first 2 shown]
	v_mul_f64 v[46:47], v[52:53], v[88:89]
	v_mul_f64 v[4:5], v[50:51], v[88:89]
	v_fmac_f64_e32 v[0:1], v[54:55], v[8:9]
	v_fma_f64 v[2:3], v[56:57], v[8:9], -v[2:3]
	v_fmac_f64_e32 v[46:47], v[50:51], v[86:87]
	v_fma_f64 v[48:49], v[52:53], v[86:87], -v[4:5]
	ds_write_b128 v253, v[0:3] offset:1440
	s_waitcnt vmcnt(10)
	v_mul_f64 v[0:1], v[64:65], v[38:39]
	v_mul_f64 v[2:3], v[62:63], v[38:39]
	ds_write_b128 v253, v[46:49] offset:720
	v_mul_f64 v[46:47], v[60:61], v[26:27]
	v_mul_f64 v[4:5], v[58:59], v[26:27]
	v_fmac_f64_e32 v[0:1], v[62:63], v[36:37]
	v_fma_f64 v[2:3], v[64:65], v[36:37], -v[2:3]
	v_fmac_f64_e32 v[46:47], v[58:59], v[24:25]
	v_fma_f64 v[48:49], v[60:61], v[24:25], -v[4:5]
	ds_write_b128 v253, v[0:3] offset:2880
	s_waitcnt vmcnt(6)
	v_mul_f64 v[0:1], v[72:73], v[18:19]
	v_mul_f64 v[2:3], v[70:71], v[18:19]
	ds_write_b128 v253, v[46:49] offset:2160
	v_mul_f64 v[46:47], v[68:69], v[22:23]
	v_mul_f64 v[4:5], v[66:67], v[22:23]
	v_fmac_f64_e32 v[0:1], v[70:71], v[16:17]
	v_fma_f64 v[2:3], v[72:73], v[16:17], -v[2:3]
	v_fmac_f64_e32 v[46:47], v[66:67], v[20:21]
	v_fma_f64 v[48:49], v[68:69], v[20:21], -v[4:5]
	ds_write_b128 v253, v[0:3] offset:4320
	s_waitcnt vmcnt(4)
	v_mul_f64 v[0:1], v[74:75], v[34:35]
	ds_write_b128 v253, v[46:49] offset:3600
	v_fma_f64 v[48:49], v[76:77], v[32:33], -v[0:1]
	s_waitcnt vmcnt(2)
	v_mul_f64 v[0:1], v[80:81], v[14:15]
	v_mul_f64 v[2:3], v[78:79], v[14:15]
	v_fmac_f64_e32 v[0:1], v[78:79], v[12:13]
	v_fma_f64 v[2:3], v[80:81], v[12:13], -v[2:3]
	v_accvgpr_write_b32 a32, v86
	v_accvgpr_write_b32 a4, v8
	;; [unrolled: 1-line block ×5, first 2 shown]
	v_mul_f64 v[46:47], v[76:77], v[34:35]
	v_accvgpr_write_b32 a28, v32
	v_accvgpr_write_b32 a8, v12
	ds_write_b128 v253, v[0:3] offset:5760
	s_waitcnt vmcnt(0)
	v_mul_f64 v[0:1], v[84:85], v[30:31]
	v_mul_f64 v[2:3], v[82:83], v[30:31]
	v_accvgpr_write_b32 a24, v28
	v_accvgpr_write_b32 a33, v87
	;; [unrolled: 1-line block ×16, first 2 shown]
	v_fmac_f64_e32 v[46:47], v[74:75], v[32:33]
	v_accvgpr_write_b32 a29, v33
	v_accvgpr_write_b32 a30, v34
	;; [unrolled: 1-line block ×6, first 2 shown]
	v_fmac_f64_e32 v[0:1], v[82:83], v[28:29]
	v_accvgpr_write_b32 a25, v29
	v_accvgpr_write_b32 a26, v30
	;; [unrolled: 1-line block ×3, first 2 shown]
	v_fma_f64 v[2:3], v[84:85], v[28:29], -v[2:3]
	ds_write_b128 v253, v[46:49] offset:5040
	ds_write_b128 v253, v[0:3] offset:6480
	s_and_saveexec_b64 s[12:13], vcc
	s_cbranch_execz .LBB0_3
; %bb.2:
	v_mov_b32_e32 v0, 0xffffe890
	s_mulk_i32 s9, 0xe890
	v_mad_u64_u32 v[4:5], s[14:15], s8, v0, v[44:45]
	s_sub_i32 s8, s9, s8
	v_add_u32_e32 v5, s8, v5
	global_load_dwordx4 v[0:3], v[4:5], off
	global_load_dwordx4 v[42:45], v[248:249], off offset:480
	v_lshl_add_u64 v[4:5], v[4:5], 0, s[10:11]
	global_load_dwordx4 v[46:49], v[4:5], off
	global_load_dwordx4 v[50:53], v[248:249], off offset:1200
	v_lshl_add_u64 v[4:5], v[4:5], 0, s[10:11]
	global_load_dwordx4 v[54:57], v[4:5], off
	global_load_dwordx4 v[58:61], v[248:249], off offset:1920
	global_load_dwordx4 v[62:65], v[248:249], off offset:2640
	v_lshl_add_u64 v[4:5], v[4:5], 0, s[10:11]
	global_load_dwordx4 v[66:69], v[4:5], off
	v_lshl_add_u64 v[4:5], v[4:5], 0, s[10:11]
	global_load_dwordx4 v[70:73], v[4:5], off
	global_load_dwordx4 v[74:77], v[248:249], off offset:3360
	global_load_dwordx4 v[78:81], v[248:249], off offset:4080
	v_lshl_add_u64 v[4:5], v[4:5], 0, s[10:11]
	global_load_dwordx4 v[82:85], v[4:5], off
	;; [unrolled: 6-line block ×4, first 2 shown]
	s_waitcnt vmcnt(18)
	v_mul_f64 v[40:41], v[2:3], v[44:45]
	v_mul_f64 v[4:5], v[0:1], v[44:45]
	v_fmac_f64_e32 v[40:41], v[0:1], v[42:43]
	v_fma_f64 v[42:43], v[2:3], v[42:43], -v[4:5]
	s_waitcnt vmcnt(16)
	v_mul_f64 v[0:1], v[48:49], v[52:53]
	v_mul_f64 v[2:3], v[46:47], v[52:53]
	v_fmac_f64_e32 v[0:1], v[46:47], v[50:51]
	v_fma_f64 v[2:3], v[48:49], v[50:51], -v[2:3]
	ds_write_b128 v253, v[40:43] offset:480
	s_waitcnt vmcnt(14)
	v_mul_f64 v[40:41], v[56:57], v[60:61]
	v_mul_f64 v[4:5], v[54:55], v[60:61]
	ds_write_b128 v253, v[0:3] offset:1200
	s_waitcnt vmcnt(12)
	v_mul_f64 v[0:1], v[68:69], v[64:65]
	v_mul_f64 v[2:3], v[66:67], v[64:65]
	v_fmac_f64_e32 v[40:41], v[54:55], v[58:59]
	v_fma_f64 v[42:43], v[56:57], v[58:59], -v[4:5]
	v_fmac_f64_e32 v[0:1], v[66:67], v[62:63]
	v_fma_f64 v[2:3], v[68:69], v[62:63], -v[2:3]
	ds_write_b128 v253, v[40:43] offset:1920
	s_waitcnt vmcnt(10)
	v_mul_f64 v[40:41], v[72:73], v[76:77]
	v_mul_f64 v[4:5], v[70:71], v[76:77]
	ds_write_b128 v253, v[0:3] offset:2640
	s_waitcnt vmcnt(8)
	v_mul_f64 v[0:1], v[84:85], v[80:81]
	v_mul_f64 v[2:3], v[82:83], v[80:81]
	v_fmac_f64_e32 v[40:41], v[70:71], v[74:75]
	v_fma_f64 v[42:43], v[72:73], v[74:75], -v[4:5]
	;; [unrolled: 12-line block ×4, first 2 shown]
	v_fmac_f64_e32 v[0:1], v[114:115], v[110:111]
	v_fma_f64 v[2:3], v[116:117], v[110:111], -v[2:3]
	ds_write_b128 v253, v[40:43] offset:6240
	ds_write_b128 v253, v[0:3] offset:6960
.LBB0_3:
	s_or_b64 exec, exec, s[12:13]
	s_waitcnt lgkmcnt(0)
	s_barrier
	ds_read_b128 v[72:75], v253
	ds_read_b128 v[80:83], v253 offset:720
	ds_read_b128 v[104:107], v253 offset:1440
	;; [unrolled: 1-line block ×9, first 2 shown]
	s_load_dwordx2 s[8:9], s[0:1], 0x8
                                        ; implicit-def: $vgpr60_vgpr61
                                        ; implicit-def: $vgpr40_vgpr41
                                        ; implicit-def: $vgpr56_vgpr57
                                        ; implicit-def: $vgpr44_vgpr45
                                        ; implicit-def: $vgpr68_vgpr69
                                        ; implicit-def: $vgpr48_vgpr49
                                        ; implicit-def: $vgpr76_vgpr77
                                        ; implicit-def: $vgpr52_vgpr53
                                        ; implicit-def: $vgpr84_vgpr85
                                        ; implicit-def: $vgpr64_vgpr65
	s_and_saveexec_b64 s[0:1], vcc
	s_cbranch_execz .LBB0_5
; %bb.4:
	ds_read_b128 v[60:63], v253 offset:480
	ds_read_b128 v[40:43], v253 offset:1200
	;; [unrolled: 1-line block ×10, first 2 shown]
.LBB0_5:
	s_or_b64 exec, exec, s[0:1]
	s_waitcnt lgkmcnt(0)
	v_add_f64 v[2:3], v[108:109], v[112:113]
	s_mov_b32 s10, 0x134454ff
	v_fma_f64 v[2:3], -0.5, v[2:3], v[72:73]
	v_add_f64 v[4:5], v[106:107], -v[118:119]
	s_mov_b32 s11, 0x3fee6f0e
	s_mov_b32 s0, 0x4755a5e
	;; [unrolled: 1-line block ×4, first 2 shown]
	v_fma_f64 v[6:7], s[10:11], v[4:5], v[2:3]
	v_add_f64 v[8:9], v[110:111], -v[114:115]
	s_mov_b32 s1, 0x3fe2cf23
	v_add_f64 v[10:11], v[104:105], -v[108:109]
	v_add_f64 v[120:121], v[116:117], -v[112:113]
	s_mov_b32 s12, 0x372fe950
	v_fmac_f64_e32 v[2:3], s[14:15], v[4:5]
	s_mov_b32 s17, 0xbfe2cf23
	s_mov_b32 s16, s0
	v_fmac_f64_e32 v[6:7], s[0:1], v[8:9]
	v_add_f64 v[10:11], v[10:11], v[120:121]
	s_mov_b32 s13, 0x3fd3c6ef
	v_fmac_f64_e32 v[2:3], s[16:17], v[8:9]
	v_fmac_f64_e32 v[6:7], s[12:13], v[10:11]
	;; [unrolled: 1-line block ×3, first 2 shown]
	v_add_f64 v[10:11], v[104:105], v[116:117]
	v_add_f64 v[0:1], v[72:73], v[104:105]
	v_fmac_f64_e32 v[72:73], -0.5, v[10:11]
	v_add_f64 v[0:1], v[0:1], v[108:109]
	v_fma_f64 v[10:11], s[14:15], v[8:9], v[72:73]
	v_add_f64 v[120:121], v[108:109], -v[104:105]
	v_add_f64 v[122:123], v[112:113], -v[116:117]
	v_fmac_f64_e32 v[72:73], s[10:11], v[8:9]
	v_add_f64 v[8:9], v[110:111], v[114:115]
	v_add_f64 v[0:1], v[0:1], v[112:113]
	v_fmac_f64_e32 v[10:11], s[0:1], v[4:5]
	v_add_f64 v[120:121], v[120:121], v[122:123]
	v_fmac_f64_e32 v[72:73], s[16:17], v[4:5]
	v_fma_f64 v[8:9], -0.5, v[8:9], v[74:75]
	v_add_f64 v[104:105], v[104:105], -v[116:117]
	v_add_f64 v[0:1], v[0:1], v[116:117]
	v_fmac_f64_e32 v[10:11], s[12:13], v[120:121]
	v_fmac_f64_e32 v[72:73], s[12:13], v[120:121]
	v_fma_f64 v[116:117], s[14:15], v[104:105], v[8:9]
	v_add_f64 v[108:109], v[108:109], -v[112:113]
	v_add_f64 v[112:113], v[106:107], -v[110:111]
	v_add_f64 v[120:121], v[118:119], -v[114:115]
	v_fmac_f64_e32 v[8:9], s[10:11], v[104:105]
	v_fmac_f64_e32 v[116:117], s[16:17], v[108:109]
	v_add_f64 v[112:113], v[112:113], v[120:121]
	v_fmac_f64_e32 v[8:9], s[0:1], v[108:109]
	v_fmac_f64_e32 v[116:117], s[12:13], v[112:113]
	;; [unrolled: 1-line block ×3, first 2 shown]
	v_add_f64 v[112:113], v[106:107], v[118:119]
	v_add_f64 v[4:5], v[74:75], v[106:107]
	v_fmac_f64_e32 v[74:75], -0.5, v[112:113]
	v_fma_f64 v[112:113], s[10:11], v[108:109], v[74:75]
	v_fmac_f64_e32 v[74:75], s[14:15], v[108:109]
	v_fmac_f64_e32 v[112:113], s[16:17], v[104:105]
	;; [unrolled: 1-line block ×3, first 2 shown]
	v_add_f64 v[104:105], v[80:81], v[88:89]
	v_add_f64 v[104:105], v[104:105], v[92:93]
	;; [unrolled: 1-line block ×4, first 2 shown]
	v_add_f64 v[106:107], v[110:111], -v[106:107]
	v_add_f64 v[110:111], v[114:115], -v[118:119]
	v_add_f64 v[108:109], v[104:105], v[100:101]
	v_add_f64 v[104:105], v[92:93], v[96:97]
	;; [unrolled: 1-line block ×4, first 2 shown]
	v_fma_f64 v[110:111], -0.5, v[104:105], v[80:81]
	v_add_f64 v[104:105], v[90:91], -v[102:103]
	v_add_f64 v[4:5], v[4:5], v[118:119]
	v_fmac_f64_e32 v[112:113], s[12:13], v[106:107]
	v_fmac_f64_e32 v[74:75], s[12:13], v[106:107]
	v_fma_f64 v[106:107], s[10:11], v[104:105], v[110:111]
	v_add_f64 v[114:115], v[94:95], -v[98:99]
	v_add_f64 v[118:119], v[88:89], -v[92:93]
	v_add_f64 v[120:121], v[100:101], -v[96:97]
	v_fmac_f64_e32 v[110:111], s[14:15], v[104:105]
	v_fmac_f64_e32 v[106:107], s[0:1], v[114:115]
	v_add_f64 v[118:119], v[118:119], v[120:121]
	v_fmac_f64_e32 v[110:111], s[16:17], v[114:115]
	v_fmac_f64_e32 v[106:107], s[12:13], v[118:119]
	v_fmac_f64_e32 v[110:111], s[12:13], v[118:119]
	v_add_f64 v[118:119], v[88:89], v[100:101]
	v_fmac_f64_e32 v[80:81], -0.5, v[118:119]
	v_fma_f64 v[118:119], s[14:15], v[114:115], v[80:81]
	v_fmac_f64_e32 v[80:81], s[10:11], v[114:115]
	v_fmac_f64_e32 v[118:119], s[0:1], v[104:105]
	;; [unrolled: 1-line block ×3, first 2 shown]
	v_add_f64 v[104:105], v[82:83], v[90:91]
	v_add_f64 v[104:105], v[104:105], v[94:95]
	v_add_f64 v[120:121], v[92:93], -v[88:89]
	v_add_f64 v[122:123], v[96:97], -v[100:101]
	v_add_f64 v[104:105], v[104:105], v[98:99]
	v_add_f64 v[120:121], v[120:121], v[122:123]
	;; [unrolled: 1-line block ×4, first 2 shown]
	v_fmac_f64_e32 v[118:119], s[12:13], v[120:121]
	v_fmac_f64_e32 v[80:81], s[12:13], v[120:121]
	v_fma_f64 v[120:121], -0.5, v[104:105], v[82:83]
	v_add_f64 v[88:89], v[88:89], -v[100:101]
	v_fma_f64 v[122:123], s[14:15], v[88:89], v[120:121]
	v_add_f64 v[92:93], v[92:93], -v[96:97]
	v_add_f64 v[96:97], v[90:91], -v[94:95]
	;; [unrolled: 1-line block ×3, first 2 shown]
	v_fmac_f64_e32 v[120:121], s[10:11], v[88:89]
	v_fmac_f64_e32 v[122:123], s[16:17], v[92:93]
	v_add_f64 v[96:97], v[96:97], v[100:101]
	v_fmac_f64_e32 v[120:121], s[0:1], v[92:93]
	v_fmac_f64_e32 v[122:123], s[12:13], v[96:97]
	;; [unrolled: 1-line block ×3, first 2 shown]
	v_add_f64 v[96:97], v[90:91], v[102:103]
	v_fmac_f64_e32 v[82:83], -0.5, v[96:97]
	v_fma_f64 v[124:125], s[10:11], v[92:93], v[82:83]
	v_add_f64 v[90:91], v[94:95], -v[90:91]
	v_add_f64 v[94:95], v[98:99], -v[102:103]
	v_fmac_f64_e32 v[82:83], s[14:15], v[92:93]
	v_fmac_f64_e32 v[124:125], s[16:17], v[88:89]
	v_add_f64 v[90:91], v[90:91], v[94:95]
	v_fmac_f64_e32 v[82:83], s[0:1], v[88:89]
	s_mov_b32 s20, 0x9b97f4a8
	v_fmac_f64_e32 v[124:125], s[12:13], v[90:91]
	v_fmac_f64_e32 v[82:83], s[12:13], v[90:91]
	s_mov_b32 s21, 0x3fe9e377
	v_mul_f64 v[90:91], v[80:81], s[12:13]
	v_fma_f64 v[134:135], v[82:83], s[10:11], -v[90:91]
	v_mul_f64 v[90:91], v[110:111], s[20:21]
	v_mul_f64 v[82:83], v[82:83], s[12:13]
	v_fma_f64 v[136:137], v[120:121], s[0:1], -v[90:91]
	v_fma_f64 v[82:83], v[80:81], s[14:15], -v[82:83]
	v_mul_f64 v[80:81], v[120:121], s[20:21]
	v_add_f64 v[100:101], v[72:73], v[134:135]
	v_add_f64 v[96:97], v[2:3], v[136:137]
	;; [unrolled: 1-line block ×3, first 2 shown]
	v_fma_f64 v[110:111], v[110:111], s[16:17], -v[80:81]
	v_add_f64 v[80:81], v[72:73], -v[134:135]
	v_add_f64 v[72:73], v[2:3], -v[136:137]
	;; [unrolled: 1-line block ×3, first 2 shown]
	v_add_f64 v[4:5], v[60:61], v[56:57]
	v_mul_f64 v[130:131], v[124:125], s[10:11]
	v_add_f64 v[4:5], v[4:5], v[68:69]
	v_fmac_f64_e32 v[130:131], s[12:13], v[118:119]
	v_mul_f64 v[118:119], v[118:119], s[14:15]
	v_add_f64 v[4:5], v[4:5], v[76:77]
	v_add_f64 v[88:89], v[0:1], v[108:109]
	v_mul_f64 v[126:127], v[106:107], s[20:21]
	v_fmac_f64_e32 v[118:119], s[12:13], v[124:125]
	v_add_f64 v[0:1], v[0:1], -v[108:109]
	v_add_f64 v[108:109], v[4:5], v[84:85]
	v_add_f64 v[4:5], v[68:69], v[76:77]
	v_fmac_f64_e32 v[126:127], s[0:1], v[122:123]
	v_mul_f64 v[138:139], v[106:107], s[16:17]
	v_add_f64 v[106:107], v[112:113], v[118:119]
	v_add_f64 v[134:135], v[112:113], -v[118:119]
	v_fma_f64 v[112:113], -0.5, v[4:5], v[60:61]
	v_add_f64 v[4:5], v[58:59], -v[86:87]
	v_add_f64 v[92:93], v[6:7], v[126:127]
	v_add_f64 v[104:105], v[10:11], v[130:131]
	;; [unrolled: 1-line block ×4, first 2 shown]
	v_add_f64 v[128:129], v[6:7], -v[126:127]
	v_add_f64 v[132:133], v[10:11], -v[130:131]
	;; [unrolled: 1-line block ×4, first 2 shown]
	v_fma_f64 v[110:111], s[10:11], v[4:5], v[112:113]
	v_add_f64 v[6:7], v[70:71], -v[78:79]
	v_add_f64 v[8:9], v[56:57], -v[68:69]
	;; [unrolled: 1-line block ×3, first 2 shown]
	v_fmac_f64_e32 v[112:113], s[14:15], v[4:5]
	v_fmac_f64_e32 v[110:111], s[0:1], v[6:7]
	v_add_f64 v[8:9], v[8:9], v[10:11]
	v_fmac_f64_e32 v[112:113], s[16:17], v[6:7]
	v_fmac_f64_e32 v[110:111], s[12:13], v[8:9]
	;; [unrolled: 1-line block ×3, first 2 shown]
	v_add_f64 v[8:9], v[56:57], v[84:85]
	v_fmac_f64_e32 v[60:61], -0.5, v[8:9]
	v_fma_f64 v[114:115], s[14:15], v[6:7], v[60:61]
	v_fmac_f64_e32 v[60:61], s[10:11], v[6:7]
	v_fmac_f64_e32 v[114:115], s[0:1], v[4:5]
	;; [unrolled: 1-line block ×3, first 2 shown]
	v_add_f64 v[4:5], v[62:63], v[58:59]
	v_add_f64 v[4:5], v[4:5], v[70:71]
	v_fmac_f64_e32 v[138:139], s[20:21], v[122:123]
	v_add_f64 v[4:5], v[4:5], v[78:79]
	v_add_f64 v[94:95], v[116:117], v[138:139]
	v_add_f64 v[130:131], v[116:117], -v[138:139]
	v_add_f64 v[8:9], v[68:69], -v[56:57]
	;; [unrolled: 1-line block ×3, first 2 shown]
	v_add_f64 v[116:117], v[4:5], v[86:87]
	v_add_f64 v[4:5], v[70:71], v[78:79]
	;; [unrolled: 1-line block ×3, first 2 shown]
	v_fma_f64 v[118:119], -0.5, v[4:5], v[62:63]
	v_add_f64 v[4:5], v[56:57], -v[84:85]
	v_fmac_f64_e32 v[114:115], s[12:13], v[8:9]
	v_fmac_f64_e32 v[60:61], s[12:13], v[8:9]
	v_fma_f64 v[84:85], s[14:15], v[4:5], v[118:119]
	v_add_f64 v[6:7], v[68:69], -v[76:77]
	v_add_f64 v[8:9], v[58:59], -v[70:71]
	;; [unrolled: 1-line block ×3, first 2 shown]
	v_fmac_f64_e32 v[118:119], s[10:11], v[4:5]
	v_fmac_f64_e32 v[84:85], s[16:17], v[6:7]
	v_add_f64 v[8:9], v[8:9], v[10:11]
	v_fmac_f64_e32 v[118:119], s[0:1], v[6:7]
	v_fmac_f64_e32 v[84:85], s[12:13], v[8:9]
	v_fmac_f64_e32 v[118:119], s[12:13], v[8:9]
	v_add_f64 v[8:9], v[58:59], v[86:87]
	v_fmac_f64_e32 v[62:63], -0.5, v[8:9]
	v_fma_f64 v[76:77], s[10:11], v[6:7], v[62:63]
	v_fmac_f64_e32 v[62:63], s[14:15], v[6:7]
	v_fmac_f64_e32 v[76:77], s[16:17], v[4:5]
	;; [unrolled: 1-line block ×3, first 2 shown]
	v_add_f64 v[4:5], v[40:41], v[44:45]
	v_add_f64 v[4:5], v[4:5], v[48:49]
	v_add_f64 v[4:5], v[4:5], v[52:53]
	v_add_f64 v[8:9], v[70:71], -v[58:59]
	v_add_f64 v[10:11], v[78:79], -v[86:87]
	v_add_f64 v[68:69], v[4:5], v[64:65]
	v_add_f64 v[4:5], v[48:49], v[52:53]
	;; [unrolled: 1-line block ×3, first 2 shown]
	v_fma_f64 v[4:5], -0.5, v[4:5], v[40:41]
	v_add_f64 v[6:7], v[46:47], -v[66:67]
	v_fmac_f64_e32 v[76:77], s[12:13], v[8:9]
	v_fmac_f64_e32 v[62:63], s[12:13], v[8:9]
	v_fma_f64 v[8:9], s[10:11], v[6:7], v[4:5]
	v_add_f64 v[10:11], v[50:51], -v[54:55]
	v_add_f64 v[56:57], v[44:45], -v[48:49]
	;; [unrolled: 1-line block ×3, first 2 shown]
	v_fmac_f64_e32 v[4:5], s[14:15], v[6:7]
	v_fmac_f64_e32 v[8:9], s[0:1], v[10:11]
	v_add_f64 v[56:57], v[56:57], v[58:59]
	v_fmac_f64_e32 v[4:5], s[16:17], v[10:11]
	v_fmac_f64_e32 v[8:9], s[12:13], v[56:57]
	;; [unrolled: 1-line block ×3, first 2 shown]
	v_add_f64 v[56:57], v[44:45], v[64:65]
	v_fmac_f64_e32 v[40:41], -0.5, v[56:57]
	v_fma_f64 v[56:57], s[14:15], v[10:11], v[40:41]
	v_fmac_f64_e32 v[40:41], s[10:11], v[10:11]
	v_fmac_f64_e32 v[56:57], s[0:1], v[6:7]
	;; [unrolled: 1-line block ×3, first 2 shown]
	v_add_f64 v[6:7], v[42:43], v[46:47]
	v_add_f64 v[6:7], v[6:7], v[50:51]
	v_add_f64 v[58:59], v[48:49], -v[44:45]
	v_add_f64 v[70:71], v[52:53], -v[64:65]
	v_add_f64 v[6:7], v[6:7], v[54:55]
	v_add_f64 v[58:59], v[58:59], v[70:71]
	;; [unrolled: 1-line block ×4, first 2 shown]
	v_fma_f64 v[6:7], -0.5, v[6:7], v[42:43]
	v_add_f64 v[10:11], v[44:45], -v[64:65]
	v_fmac_f64_e32 v[56:57], s[12:13], v[58:59]
	v_fmac_f64_e32 v[40:41], s[12:13], v[58:59]
	v_fma_f64 v[44:45], s[14:15], v[10:11], v[6:7]
	v_add_f64 v[48:49], v[48:49], -v[52:53]
	v_add_f64 v[52:53], v[46:47], -v[50:51]
	;; [unrolled: 1-line block ×3, first 2 shown]
	v_fmac_f64_e32 v[6:7], s[10:11], v[10:11]
	v_fmac_f64_e32 v[44:45], s[16:17], v[48:49]
	v_add_f64 v[52:53], v[52:53], v[58:59]
	v_fmac_f64_e32 v[6:7], s[0:1], v[48:49]
	v_fmac_f64_e32 v[44:45], s[12:13], v[52:53]
	;; [unrolled: 1-line block ×3, first 2 shown]
	v_add_f64 v[52:53], v[46:47], v[66:67]
	v_fmac_f64_e32 v[42:43], -0.5, v[52:53]
	v_fma_f64 v[52:53], s[10:11], v[48:49], v[42:43]
	v_add_f64 v[46:47], v[50:51], -v[46:47]
	v_add_f64 v[50:51], v[54:55], -v[66:67]
	v_fmac_f64_e32 v[42:43], s[14:15], v[48:49]
	v_add_f64 v[46:47], v[46:47], v[50:51]
	v_fmac_f64_e32 v[42:43], s[0:1], v[10:11]
	v_fmac_f64_e32 v[52:53], s[16:17], v[10:11]
	;; [unrolled: 1-line block ×3, first 2 shown]
	v_mul_f64 v[10:11], v[40:41], s[12:13]
	v_fma_f64 v[78:79], v[42:43], s[10:11], -v[10:11]
	v_mul_f64 v[10:11], v[4:5], s[20:21]
	v_fma_f64 v[86:87], v[6:7], s[0:1], -v[10:11]
	v_mul_f64 v[6:7], v[6:7], s[20:21]
	v_fmac_f64_e32 v[52:53], s[12:13], v[46:47]
	v_fma_f64 v[126:127], v[4:5], s[16:17], -v[6:7]
	v_mul_lo_u16_e32 v4, 10, v250
	v_lshl_add_u64 v[204:205], v[250:251], 0, 30
	v_mul_f64 v[64:65], v[8:9], s[20:21]
	v_mul_f64 v[66:67], v[52:53], s[10:11]
	;; [unrolled: 1-line block ×5, first 2 shown]
	v_lshl_add_u32 v255, v4, 4, v186
	v_fmac_f64_e32 v[64:65], s[0:1], v[44:45]
	v_fmac_f64_e32 v[66:67], s[12:13], v[56:57]
	;; [unrolled: 1-line block ×4, first 2 shown]
	v_fma_f64 v[124:125], v[40:41], s[14:15], -v[8:9]
	s_barrier
	ds_write_b128 v255, v[88:91]
	ds_write_b128 v255, v[92:95] offset:16
	ds_write_b128 v255, v[104:107] offset:32
	;; [unrolled: 1-line block ×9, first 2 shown]
	v_mul_u32_u24_e32 v0, 10, v204
	v_add_f64 v[40:41], v[108:109], -v[68:69]
	v_add_f64 v[44:45], v[110:111], -v[64:65]
	;; [unrolled: 1-line block ×10, first 2 shown]
	v_accvgpr_write_b32 a36, v0
	s_and_saveexec_b64 s[20:21], vcc
	s_cbranch_execz .LBB0_7
; %bb.6:
	v_accvgpr_read_b32 v4, a36
	v_add_f64 v[80:81], v[116:117], v[70:71]
	v_add_f64 v[60:61], v[60:61], v[78:79]
	;; [unrolled: 1-line block ×3, first 2 shown]
	v_lshl_add_u32 v4, v4, 4, v186
	v_add_f64 v[2:3], v[118:119], v[126:127]
	v_add_f64 v[62:63], v[62:63], v[124:125]
	;; [unrolled: 1-line block ×7, first 2 shown]
	ds_write_b128 v4, v[78:81]
	ds_write_b128 v4, v[74:77] offset:16
	ds_write_b128 v4, v[70:73] offset:32
	;; [unrolled: 1-line block ×9, first 2 shown]
.LBB0_7:
	s_or_b64 exec, exec, s[20:21]
	v_lshlrev_b32_e32 v0, 4, v250
	v_mov_b32_e32 v1, 0
	v_lshl_add_u64 v[224:225], s[18:19], 0, v[0:1]
	s_mov_b64 s[18:19], 0x78
	v_lshl_add_u64 v[206:207], v[250:251], 0, s[18:19]
	s_movk_i32 s18, 0xcd
	v_mul_lo_u16_sdwa v0, v250, s18 dst_sel:DWORD dst_unused:UNUSED_PAD src0_sel:BYTE_0 src1_sel:DWORD
	v_lshrrev_b16_e32 v0, 11, v0
	v_mul_lo_u16_e32 v1, 10, v0
	v_sub_u16_e32 v1, v250, v1
	v_lshlrev_b16_e32 v2, 2, v1
	v_and_b32_e32 v2, 0xfc, v2
	v_lshlrev_b32_e32 v2, 4, v2
	s_waitcnt lgkmcnt(0)
	s_barrier
	ds_read_b128 v[112:115], v253
	ds_read_b128 v[76:79], v253 offset:1440
	ds_read_b128 v[80:83], v253 offset:2880
	;; [unrolled: 1-line block ×14, first 2 shown]
	global_load_dwordx4 v[60:63], v2, s[8:9] offset:48
	global_load_dwordx4 v[64:67], v2, s[8:9] offset:32
	;; [unrolled: 1-line block ×3, first 2 shown]
	global_load_dwordx4 v[72:75], v2, s[8:9]
	v_mov_b32_e32 v6, 6
	v_lshl_add_u64 v[222:223], v[250:251], 0, 60
	v_mad_legacy_u16 v0, v0, 50, v1
	v_and_b32_e32 v0, 0xff, v0
	v_lshl_add_u32 v254, v0, 4, v186
	v_mov_b32_e32 v24, v186
	s_mov_b64 s[20:21], 0x5a
	v_lshl_add_u64 v[220:221], v[250:251], 0, s[20:21]
	s_waitcnt vmcnt(3) lgkmcnt(10)
	v_mul_f64 v[142:143], v[88:89], v[62:63]
	s_waitcnt vmcnt(2)
	v_mul_f64 v[140:141], v[84:85], v[66:67]
	s_waitcnt vmcnt(1)
	;; [unrolled: 2-line block ×3, first 2 shown]
	v_mul_f64 v[2:3], v[78:79], v[74:75]
	v_fma_f64 v[144:145], v[76:77], v[72:73], -v[2:3]
	v_mul_f64 v[2:3], v[82:83], v[70:71]
	v_fma_f64 v[146:147], v[80:81], v[68:69], -v[2:3]
	;; [unrolled: 2-line block ×4, first 2 shown]
	v_mul_lo_u16_sdwa v2, v204, s18 dst_sel:DWORD dst_unused:UNUSED_PAD src0_sel:BYTE_0 src1_sel:DWORD
	v_lshrrev_b16_e32 v2, 11, v2
	v_mul_lo_u16_e32 v3, 10, v2
	v_sub_u16_e32 v3, v204, v3
	v_mul_f64 v[136:137], v[76:77], v[74:75]
	v_lshlrev_b32_sdwa v4, v6, v3 dst_sel:DWORD dst_unused:UNUSED_PAD src0_sel:DWORD src1_sel:BYTE_0
	v_fmac_f64_e32 v[136:137], v[78:79], v[72:73]
	v_fmac_f64_e32 v[138:139], v[82:83], v[68:69]
	;; [unrolled: 1-line block ×4, first 2 shown]
	global_load_dwordx4 v[76:79], v4, s[8:9] offset:48
	global_load_dwordx4 v[80:83], v4, s[8:9] offset:32
	;; [unrolled: 1-line block ×3, first 2 shown]
	global_load_dwordx4 v[88:91], v4, s[8:9]
	v_add_f64 v[8:9], v[144:145], -v[146:147]
	v_add_f64 v[10:11], v[150:151], -v[148:149]
	v_add_f64 v[8:9], v[8:9], v[10:11]
	v_add_f64 v[10:11], v[148:149], -v[150:151]
	v_mul_u32_u24_e32 v0, 50, v2
	v_add_u32_sdwa v0, v0, v3 dst_sel:DWORD dst_unused:UNUSED_PAD src0_sel:DWORD src1_sel:BYTE_0
	v_lshl_add_u32 v0, v0, 4, v186
	v_lshlrev_b32_e32 v2, 5, v250
	s_waitcnt vmcnt(3) lgkmcnt(5)
	v_mul_f64 v[158:159], v[92:93], v[78:79]
	s_waitcnt vmcnt(2)
	v_mul_f64 v[156:157], v[96:97], v[82:83]
	s_waitcnt vmcnt(1)
	;; [unrolled: 2-line block ×3, first 2 shown]
	v_mul_f64 v[4:5], v[106:107], v[90:91]
	v_fma_f64 v[160:161], v[104:105], v[88:89], -v[4:5]
	v_mul_f64 v[4:5], v[102:103], v[86:87]
	v_fma_f64 v[162:163], v[100:101], v[84:85], -v[4:5]
	;; [unrolled: 2-line block ×4, first 2 shown]
	v_mul_lo_u16_sdwa v4, v222, s18 dst_sel:DWORD dst_unused:UNUSED_PAD src0_sel:BYTE_0 src1_sel:DWORD
	v_lshrrev_b16_e32 v184, 11, v4
	v_mul_lo_u16_e32 v4, 10, v184
	v_sub_u16_e32 v185, v222, v4
	v_mul_f64 v[152:153], v[104:105], v[90:91]
	v_lshlrev_b32_sdwa v4, v6, v185 dst_sel:DWORD dst_unused:UNUSED_PAD src0_sel:DWORD src1_sel:BYTE_0
	v_fmac_f64_e32 v[152:153], v[106:107], v[88:89]
	v_fmac_f64_e32 v[154:155], v[102:103], v[84:85]
	;; [unrolled: 1-line block ×4, first 2 shown]
	global_load_dwordx4 v[92:95], v4, s[8:9] offset:48
	global_load_dwordx4 v[96:99], v4, s[8:9] offset:32
	global_load_dwordx4 v[100:103], v4, s[8:9] offset:16
	global_load_dwordx4 v[104:107], v4, s[8:9]
	v_add_f64 v[6:7], v[138:139], -v[140:141]
	v_mul_u32_u24_e32 v1, 50, v184
	v_add_u32_sdwa v1, v1, v185 dst_sel:DWORD dst_unused:UNUSED_PAD src0_sel:DWORD src1_sel:BYTE_0
	v_lshl_add_u32 v1, v1, 4, v186
	s_waitcnt lgkmcnt(0)
	s_barrier
	s_waitcnt vmcnt(3)
	v_mul_f64 v[178:179], v[120:121], v[94:95]
	s_waitcnt vmcnt(2)
	v_mul_f64 v[176:177], v[124:125], v[98:99]
	;; [unrolled: 2-line block ×4, first 2 shown]
	v_fma_f64 v[172:173], v[132:133], v[104:105], -v[4:5]
	v_mul_f64 v[4:5], v[130:131], v[102:103]
	v_fma_f64 v[174:175], v[128:129], v[100:101], -v[4:5]
	v_mul_f64 v[4:5], v[126:127], v[98:99]
	;; [unrolled: 2-line block ×3, first 2 shown]
	v_fma_f64 v[182:183], v[120:121], v[92:93], -v[4:5]
	v_add_f64 v[4:5], v[112:113], v[144:145]
	v_add_f64 v[4:5], v[4:5], v[146:147]
	;; [unrolled: 1-line block ×5, first 2 shown]
	v_fma_f64 v[120:121], -0.5, v[4:5], v[112:113]
	v_add_f64 v[4:5], v[136:137], -v[142:143]
	v_fma_f64 v[128:129], s[10:11], v[4:5], v[120:121]
	v_fmac_f64_e32 v[120:121], s[14:15], v[4:5]
	v_fmac_f64_e32 v[128:129], s[0:1], v[6:7]
	;; [unrolled: 1-line block ×5, first 2 shown]
	v_add_f64 v[8:9], v[144:145], v[150:151]
	v_fmac_f64_e32 v[112:113], -0.5, v[8:9]
	v_mul_f64 v[168:169], v[132:133], v[106:107]
	v_fma_f64 v[132:133], s[14:15], v[6:7], v[112:113]
	v_fmac_f64_e32 v[112:113], s[10:11], v[6:7]
	v_fmac_f64_e32 v[132:133], s[0:1], v[4:5]
	;; [unrolled: 1-line block ×3, first 2 shown]
	v_add_f64 v[4:5], v[114:115], v[136:137]
	v_add_f64 v[4:5], v[4:5], v[138:139]
	;; [unrolled: 1-line block ×3, first 2 shown]
	v_fmac_f64_e32 v[176:177], v[126:127], v[96:97]
	v_add_f64 v[8:9], v[146:147], -v[144:145]
	v_add_f64 v[126:127], v[4:5], v[142:143]
	v_add_f64 v[4:5], v[138:139], v[140:141]
	v_fmac_f64_e32 v[178:179], v[122:123], v[92:93]
	v_add_f64 v[8:9], v[8:9], v[10:11]
	v_fma_f64 v[122:123], -0.5, v[4:5], v[114:115]
	v_add_f64 v[4:5], v[144:145], -v[150:151]
	v_fmac_f64_e32 v[170:171], v[130:131], v[100:101]
	v_fmac_f64_e32 v[132:133], s[12:13], v[8:9]
	;; [unrolled: 1-line block ×3, first 2 shown]
	v_fma_f64 v[130:131], s[14:15], v[4:5], v[122:123]
	v_add_f64 v[6:7], v[146:147], -v[148:149]
	v_add_f64 v[8:9], v[136:137], -v[138:139]
	;; [unrolled: 1-line block ×3, first 2 shown]
	v_fmac_f64_e32 v[122:123], s[10:11], v[4:5]
	v_fmac_f64_e32 v[130:131], s[16:17], v[6:7]
	v_add_f64 v[8:9], v[8:9], v[10:11]
	v_fmac_f64_e32 v[122:123], s[0:1], v[6:7]
	v_fmac_f64_e32 v[130:131], s[12:13], v[8:9]
	;; [unrolled: 1-line block ×3, first 2 shown]
	v_add_f64 v[8:9], v[136:137], v[142:143]
	v_fmac_f64_e32 v[114:115], -0.5, v[8:9]
	v_fmac_f64_e32 v[168:169], v[134:135], v[104:105]
	v_fma_f64 v[134:135], s[10:11], v[6:7], v[114:115]
	v_fmac_f64_e32 v[114:115], s[14:15], v[6:7]
	v_fmac_f64_e32 v[134:135], s[16:17], v[4:5]
	v_fmac_f64_e32 v[114:115], s[0:1], v[4:5]
	v_add_f64 v[4:5], v[108:109], v[160:161]
	v_add_f64 v[4:5], v[4:5], v[162:163]
	v_add_f64 v[4:5], v[4:5], v[164:165]
	v_add_f64 v[8:9], v[138:139], -v[136:137]
	v_add_f64 v[10:11], v[140:141], -v[142:143]
	v_add_f64 v[136:137], v[4:5], v[166:167]
	v_add_f64 v[4:5], v[162:163], v[164:165]
	v_add_f64 v[8:9], v[8:9], v[10:11]
	v_fma_f64 v[140:141], -0.5, v[4:5], v[108:109]
	v_add_f64 v[4:5], v[152:153], -v[158:159]
	v_fmac_f64_e32 v[134:135], s[12:13], v[8:9]
	v_fmac_f64_e32 v[114:115], s[12:13], v[8:9]
	v_fma_f64 v[144:145], s[10:11], v[4:5], v[140:141]
	v_add_f64 v[6:7], v[154:155], -v[156:157]
	v_add_f64 v[8:9], v[160:161], -v[162:163]
	v_add_f64 v[10:11], v[166:167], -v[164:165]
	v_fmac_f64_e32 v[140:141], s[14:15], v[4:5]
	v_fmac_f64_e32 v[144:145], s[0:1], v[6:7]
	v_add_f64 v[8:9], v[8:9], v[10:11]
	v_fmac_f64_e32 v[140:141], s[16:17], v[6:7]
	v_fmac_f64_e32 v[144:145], s[12:13], v[8:9]
	v_fmac_f64_e32 v[140:141], s[12:13], v[8:9]
	v_add_f64 v[8:9], v[160:161], v[166:167]
	v_fmac_f64_e32 v[108:109], -0.5, v[8:9]
	v_fma_f64 v[148:149], s[14:15], v[6:7], v[108:109]
	v_fmac_f64_e32 v[108:109], s[10:11], v[6:7]
	v_fmac_f64_e32 v[148:149], s[0:1], v[4:5]
	v_fmac_f64_e32 v[108:109], s[16:17], v[4:5]
	v_add_f64 v[4:5], v[110:111], v[152:153]
	v_add_f64 v[4:5], v[4:5], v[154:155]
	v_add_f64 v[4:5], v[4:5], v[156:157]
	v_add_f64 v[8:9], v[162:163], -v[160:161]
	v_add_f64 v[10:11], v[164:165], -v[166:167]
	v_add_f64 v[138:139], v[4:5], v[158:159]
	v_add_f64 v[4:5], v[154:155], v[156:157]
	v_add_f64 v[8:9], v[8:9], v[10:11]
	v_fma_f64 v[142:143], -0.5, v[4:5], v[110:111]
	v_add_f64 v[4:5], v[160:161], -v[166:167]
	v_fmac_f64_e32 v[148:149], s[12:13], v[8:9]
	v_fmac_f64_e32 v[108:109], s[12:13], v[8:9]
	v_fma_f64 v[146:147], s[14:15], v[4:5], v[142:143]
	v_add_f64 v[6:7], v[162:163], -v[164:165]
	v_add_f64 v[8:9], v[152:153], -v[154:155]
	v_add_f64 v[10:11], v[158:159], -v[156:157]
	v_fmac_f64_e32 v[142:143], s[10:11], v[4:5]
	v_fmac_f64_e32 v[146:147], s[16:17], v[6:7]
	v_add_f64 v[8:9], v[8:9], v[10:11]
	v_fmac_f64_e32 v[142:143], s[0:1], v[6:7]
	v_fmac_f64_e32 v[146:147], s[12:13], v[8:9]
	v_fmac_f64_e32 v[142:143], s[12:13], v[8:9]
	v_add_f64 v[8:9], v[152:153], v[158:159]
	v_fmac_f64_e32 v[110:111], -0.5, v[8:9]
	;; [unrolled: 28-line block ×4, first 2 shown]
	v_fma_f64 v[166:167], s[10:11], v[6:7], v[118:119]
	v_add_f64 v[8:9], v[170:171], -v[168:169]
	v_add_f64 v[10:11], v[176:177], -v[178:179]
	v_fmac_f64_e32 v[118:119], s[14:15], v[6:7]
	v_fmac_f64_e32 v[166:167], s[16:17], v[4:5]
	v_add_f64 v[8:9], v[8:9], v[10:11]
	v_fmac_f64_e32 v[118:119], s[0:1], v[4:5]
	v_fmac_f64_e32 v[166:167], s[12:13], v[8:9]
	;; [unrolled: 1-line block ×3, first 2 shown]
	ds_write_b128 v254, v[124:127]
	ds_write_b128 v254, v[128:131] offset:160
	ds_write_b128 v254, v[132:135] offset:320
	ds_write_b128 v254, v[112:115] offset:480
	ds_write_b128 v254, v[120:123] offset:640
	ds_write_b128 v0, v[136:139]
	ds_write_b128 v0, v[144:147] offset:160
	ds_write_b128 v0, v[148:151] offset:320
	ds_write_b128 v0, v[108:111] offset:480
	ds_write_b128 v0, v[140:143] offset:640
	ds_write_b128 v1, v[152:155]
	ds_write_b128 v1, v[160:163] offset:160
	ds_write_b128 v1, v[164:167] offset:320
	ds_write_b128 v1, v[116:119] offset:480
	ds_write_b128 v1, v[156:159] offset:640
	s_waitcnt lgkmcnt(0)
	s_barrier
	ds_read_b128 v[164:167], v253
	ds_read_b128 v[116:119], v253 offset:2400
	ds_read_b128 v[120:123], v253 offset:4800
	ds_read_b128 v[160:163], v253 offset:480
	ds_read_b128 v[124:127], v253 offset:2880
	ds_read_b128 v[128:131], v253 offset:5280
	ds_read_b128 v[156:159], v253 offset:960
	ds_read_b128 v[136:139], v253 offset:3360
	ds_read_b128 v[132:135], v253 offset:5760
	ds_read_b128 v[152:155], v253 offset:1440
	ds_read_b128 v[144:147], v253 offset:3840
	ds_read_b128 v[140:143], v253 offset:6240
	ds_read_b128 v[148:151], v253 offset:1920
	ds_read_b128 v[172:175], v253 offset:4320
	ds_read_b128 v[168:171], v253 offset:6720
	global_load_dwordx4 v[108:111], v2, s[8:9] offset:656
	global_load_dwordx4 v[112:115], v2, s[8:9] offset:640
	s_movk_i32 s0, 0xffec
	s_mov_b32 s1, -1
	v_mov_b32_e32 v6, 41
	v_mul_lo_u16_sdwa v3, v220, v6 dst_sel:DWORD dst_unused:UNUSED_PAD src0_sel:BYTE_0 src1_sel:DWORD
	v_lshrrev_b16_e32 v3, 11, v3
	s_mov_b32 s10, 0xe8584caa
	s_mov_b32 s11, 0x3febb67a
	s_mov_b32 s13, 0xbfebb67a
	s_mov_b32 s12, s10
	s_waitcnt vmcnt(1) lgkmcnt(12)
	v_mul_f64 v[182:183], v[120:121], v[110:111]
	s_waitcnt vmcnt(0)
	v_mul_f64 v[4:5], v[118:119], v[114:115]
	v_fma_f64 v[176:177], v[116:117], v[112:113], -v[4:5]
	v_mul_f64 v[4:5], v[122:123], v[110:111]
	v_fma_f64 v[180:181], v[120:121], v[108:109], -v[4:5]
	v_lshl_add_u64 v[4:5], v[250:251], 0, s[0:1]
	v_cmp_gt_u16_e64 s[0:1], 20, v250
	v_mul_f64 v[178:179], v[116:117], v[114:115]
	v_fmac_f64_e32 v[178:179], v[118:119], v[112:113]
	v_cndmask_b32_e64 v201, v5, v205, s[0:1]
	v_cndmask_b32_e64 v200, v4, v204, s[0:1]
	v_lshlrev_b64 v[4:5], 5, v[200:201]
	v_lshl_add_u64 v[4:5], s[8:9], 0, v[4:5]
	v_fmac_f64_e32 v[182:183], v[122:123], v[108:109]
	global_load_dwordx4 v[116:119], v[4:5], off offset:656
	global_load_dwordx4 v[120:123], v[4:5], off offset:640
	v_cmp_lt_u16_e64 s[0:1], 19, v250
	s_waitcnt vmcnt(1) lgkmcnt(9)
	v_mul_f64 v[190:191], v[128:129], v[118:119]
	s_waitcnt vmcnt(0)
	v_mul_f64 v[4:5], v[126:127], v[122:123]
	v_fma_f64 v[184:185], v[124:125], v[120:121], -v[4:5]
	v_mul_f64 v[186:187], v[124:125], v[122:123]
	v_mul_f64 v[4:5], v[130:131], v[118:119]
	v_fmac_f64_e32 v[186:187], v[126:127], v[120:121]
	v_fma_f64 v[188:189], v[128:129], v[116:117], -v[4:5]
	v_fmac_f64_e32 v[190:191], v[130:131], v[116:117]
	global_load_dwordx4 v[124:127], v2, s[8:9] offset:976
	global_load_dwordx4 v[128:131], v2, s[8:9] offset:960
	s_waitcnt vmcnt(1) lgkmcnt(6)
	v_mul_f64 v[212:213], v[132:133], v[126:127]
	s_waitcnt vmcnt(0)
	v_mul_f64 v[4:5], v[138:139], v[130:131]
	v_fma_f64 v[202:203], v[136:137], v[128:129], -v[4:5]
	v_mul_f64 v[4:5], v[134:135], v[126:127]
	v_fma_f64 v[210:211], v[132:133], v[124:125], -v[4:5]
	v_mul_lo_u16_e32 v4, 50, v3
	v_sub_u16_e32 v201, v220, v4
	v_mov_b32_e32 v4, 5
	v_mul_f64 v[208:209], v[136:137], v[130:131]
	v_lshlrev_b32_sdwa v4, v4, v201 dst_sel:DWORD dst_unused:UNUSED_PAD src0_sel:DWORD src1_sel:BYTE_0
	v_fmac_f64_e32 v[208:209], v[138:139], v[128:129]
	v_fmac_f64_e32 v[212:213], v[134:135], v[124:125]
	global_load_dwordx4 v[132:135], v4, s[8:9] offset:656
	global_load_dwordx4 v[136:139], v4, s[8:9] offset:640
	v_mul_u32_u24_e32 v3, 0x96, v3
	v_add_u32_sdwa v3, v3, v201 dst_sel:DWORD dst_unused:UNUSED_PAD src0_sel:DWORD src1_sel:BYTE_0
	v_lshl_add_u32 v3, v3, 4, v24
	v_accvgpr_write_b32 a38, v3
	s_waitcnt vmcnt(1) lgkmcnt(3)
	v_mul_f64 v[226:227], v[140:141], v[134:135]
	s_waitcnt vmcnt(0)
	v_mul_f64 v[4:5], v[146:147], v[138:139]
	v_fma_f64 v[214:215], v[144:145], v[136:137], -v[4:5]
	v_mul_f64 v[4:5], v[142:143], v[134:135]
	v_fma_f64 v[218:219], v[140:141], v[132:133], -v[4:5]
	v_mul_lo_u16_sdwa v4, v206, v6 dst_sel:DWORD dst_unused:UNUSED_PAD src0_sel:BYTE_0 src1_sel:DWORD
	v_lshrrev_b16_e32 v4, 11, v4
	v_mul_lo_u16_e32 v4, 50, v4
	v_sub_u16_e32 v4, v206, v4
	v_and_b32_e32 v205, 0xff, v4
	v_mul_f64 v[216:217], v[144:145], v[138:139]
	v_lshlrev_b32_e32 v4, 5, v205
	v_fmac_f64_e32 v[216:217], v[146:147], v[136:137]
	v_fmac_f64_e32 v[226:227], v[142:143], v[132:133]
	global_load_dwordx4 v[140:143], v4, s[8:9] offset:656
	global_load_dwordx4 v[144:147], v4, s[8:9] offset:640
	v_lshl_add_u32 v251, v205, 4, v24
	s_waitcnt lgkmcnt(0)
	s_barrier
	s_waitcnt vmcnt(1)
	v_mul_f64 v[8:9], v[170:171], v[142:143]
	v_fma_f64 v[8:9], v[168:169], v[140:141], -v[8:9]
	v_mul_f64 v[10:11], v[168:169], v[142:143]
	v_add_f64 v[168:169], v[164:165], v[176:177]
	v_add_f64 v[228:229], v[168:169], v[180:181]
	v_add_f64 v[168:169], v[176:177], v[180:181]
	v_fmac_f64_e32 v[164:165], -0.5, v[168:169]
	v_add_f64 v[168:169], v[178:179], -v[182:183]
	v_fma_f64 v[232:233], s[10:11], v[168:169], v[164:165]
	v_fmac_f64_e32 v[164:165], s[12:13], v[168:169]
	v_add_f64 v[168:169], v[166:167], v[178:179]
	v_add_f64 v[230:231], v[168:169], v[182:183]
	v_add_f64 v[168:169], v[178:179], v[182:183]
	v_fmac_f64_e32 v[166:167], -0.5, v[168:169]
	v_add_f64 v[168:169], v[176:177], -v[180:181]
	v_fma_f64 v[234:235], s[12:13], v[168:169], v[166:167]
	v_fmac_f64_e32 v[166:167], s[10:11], v[168:169]
	;; [unrolled: 7-line block ×7, first 2 shown]
	v_add_f64 v[168:169], v[154:155], v[216:217]
	s_waitcnt vmcnt(0)
	v_mul_f64 v[4:5], v[174:175], v[146:147]
	v_add_f64 v[182:183], v[168:169], v[226:227]
	v_add_f64 v[168:169], v[216:217], v[226:227]
	v_fma_f64 v[4:5], v[172:173], v[144:145], -v[4:5]
	v_fmac_f64_e32 v[154:155], -0.5, v[168:169]
	v_add_f64 v[168:169], v[214:215], -v[218:219]
	v_mul_f64 v[6:7], v[172:173], v[146:147]
	v_fma_f64 v[178:179], s[12:13], v[168:169], v[154:155]
	v_fmac_f64_e32 v[154:155], s[10:11], v[168:169]
	v_add_f64 v[168:169], v[148:149], v[4:5]
	v_fmac_f64_e32 v[6:7], v[174:175], v[144:145]
	v_fmac_f64_e32 v[10:11], v[170:171], v[140:141]
	v_add_f64 v[172:173], v[168:169], v[8:9]
	v_add_f64 v[168:169], v[4:5], v[8:9]
	v_fmac_f64_e32 v[148:149], -0.5, v[168:169]
	v_add_f64 v[170:171], v[6:7], -v[10:11]
	v_fma_f64 v[168:169], s[10:11], v[170:171], v[148:149]
	v_fmac_f64_e32 v[148:149], s[12:13], v[170:171]
	v_add_f64 v[170:171], v[150:151], v[6:7]
	v_add_f64 v[6:7], v[6:7], v[10:11]
	v_fmac_f64_e32 v[150:151], -0.5, v[6:7]
	v_add_f64 v[4:5], v[4:5], -v[8:9]
	v_add_f64 v[174:175], v[170:171], v[10:11]
	v_fma_f64 v[170:171], s[12:13], v[4:5], v[150:151]
	v_fmac_f64_e32 v[150:151], s[10:11], v[4:5]
	v_mov_b32_e32 v4, 0x96
	v_cndmask_b32_e64 v4, 0, v4, s[0:1]
	v_add_u32_e32 v4, v200, v4
	v_lshl_add_u32 v4, v4, 4, v24
	ds_write_b128 v253, v[228:231]
	ds_write_b128 v253, v[232:235] offset:800
	ds_write_b128 v253, v[164:167] offset:1600
	ds_write_b128 v4, v[196:199]
	ds_write_b128 v4, v[192:195] offset:800
	ds_write_b128 v4, v[160:163] offset:1600
	;; [unrolled: 1-line block ×5, first 2 shown]
	ds_write_b128 v3, v[180:183]
	ds_write_b128 v3, v[176:179] offset:800
	ds_write_b128 v3, v[152:155] offset:1600
	;; [unrolled: 1-line block ×5, first 2 shown]
	s_waitcnt lgkmcnt(0)
	s_barrier
	ds_read_b128 v[216:219], v253
	ds_read_b128 v[156:159], v253 offset:2400
	ds_read_b128 v[160:163], v253 offset:4800
	;; [unrolled: 1-line block ×14, first 2 shown]
	global_load_dwordx4 v[148:151], v2, s[8:9] offset:2256
	global_load_dwordx4 v[152:155], v2, s[8:9] offset:2240
	v_accvgpr_write_b32 a37, v4
	s_mov_b64 s[0:1], 0x1c20
	s_waitcnt vmcnt(1) lgkmcnt(12)
	v_mul_f64 v[232:233], v[160:161], v[150:151]
	s_waitcnt vmcnt(0)
	v_mul_f64 v[2:3], v[158:159], v[154:155]
	v_fma_f64 v[226:227], v[156:157], v[152:153], -v[2:3]
	v_mul_f64 v[2:3], v[162:163], v[150:151]
	v_mul_f64 v[228:229], v[156:157], v[154:155]
	v_fma_f64 v[230:231], v[160:161], v[148:149], -v[2:3]
	v_lshlrev_b32_e32 v2, 5, v204
	v_fmac_f64_e32 v[228:229], v[158:159], v[152:153]
	v_fmac_f64_e32 v[232:233], v[162:163], v[148:149]
	global_load_dwordx4 v[156:159], v2, s[8:9] offset:2256
	global_load_dwordx4 v[160:163], v2, s[8:9] offset:2240
	v_add_f64 v[4:5], v[226:227], v[230:231]
	v_add_f64 v[8:9], v[228:229], v[232:233]
	v_add_f64 v[22:23], v[226:227], -v[230:231]
	s_waitcnt vmcnt(1) lgkmcnt(9)
	v_mul_f64 v[238:239], v[168:169], v[158:159]
	s_waitcnt vmcnt(0)
	v_mul_f64 v[2:3], v[166:167], v[162:163]
	v_fma_f64 v[204:205], v[164:165], v[160:161], -v[2:3]
	v_mul_f64 v[2:3], v[170:171], v[158:159]
	v_mul_f64 v[234:235], v[164:165], v[162:163]
	v_fma_f64 v[236:237], v[168:169], v[156:157], -v[2:3]
	v_lshlrev_b32_e32 v2, 5, v222
	v_fmac_f64_e32 v[234:235], v[166:167], v[160:161]
	v_fmac_f64_e32 v[238:239], v[170:171], v[156:157]
	global_load_dwordx4 v[164:167], v2, s[8:9] offset:2256
	global_load_dwordx4 v[168:171], v2, s[8:9] offset:2240
	s_waitcnt vmcnt(1) lgkmcnt(6)
	v_mul_f64 v[244:245], v[172:173], v[166:167]
	s_waitcnt vmcnt(0)
	v_mul_f64 v[2:3], v[178:179], v[170:171]
	v_fma_f64 v[222:223], v[176:177], v[168:169], -v[2:3]
	v_mul_f64 v[2:3], v[174:175], v[166:167]
	v_mul_f64 v[240:241], v[176:177], v[170:171]
	v_fma_f64 v[242:243], v[172:173], v[164:165], -v[2:3]
	v_lshlrev_b32_e32 v2, 5, v220
	v_fmac_f64_e32 v[240:241], v[178:179], v[168:169]
	v_fmac_f64_e32 v[244:245], v[174:175], v[164:165]
	global_load_dwordx4 v[172:175], v2, s[8:9] offset:2256
	global_load_dwordx4 v[176:179], v2, s[8:9] offset:2240
	;; [unrolled: 13-line block ×3, first 2 shown]
	s_waitcnt vmcnt(1) lgkmcnt(0)
	v_mul_f64 v[20:21], v[196:197], v[182:183]
	s_waitcnt vmcnt(0)
	v_mul_f64 v[2:3], v[202:203], v[186:187]
	v_fma_f64 v[206:207], v[200:201], v[184:185], -v[2:3]
	v_mul_f64 v[2:3], v[198:199], v[182:183]
	v_fma_f64 v[18:19], v[196:197], v[180:181], -v[2:3]
	v_add_f64 v[2:3], v[216:217], v[226:227]
	v_fmac_f64_e32 v[216:217], -0.5, v[4:5]
	v_add_f64 v[4:5], v[228:229], -v[232:233]
	v_fma_f64 v[6:7], s[10:11], v[4:5], v[216:217]
	v_fmac_f64_e32 v[216:217], s[12:13], v[4:5]
	v_add_f64 v[4:5], v[218:219], v[228:229]
	v_fmac_f64_e32 v[218:219], -0.5, v[8:9]
	v_fma_f64 v[8:9], s[12:13], v[22:23], v[218:219]
	v_fmac_f64_e32 v[218:219], s[10:11], v[22:23]
	v_add_f64 v[22:23], v[212:213], v[204:205]
	v_add_f64 v[226:227], v[22:23], v[236:237]
	;; [unrolled: 1-line block ×3, first 2 shown]
	v_fmac_f64_e32 v[212:213], -0.5, v[22:23]
	v_add_f64 v[22:23], v[234:235], -v[238:239]
	v_add_f64 v[2:3], v[2:3], v[230:231]
	v_fma_f64 v[230:231], s[10:11], v[22:23], v[212:213]
	v_fmac_f64_e32 v[212:213], s[12:13], v[22:23]
	v_add_f64 v[22:23], v[214:215], v[234:235]
	v_add_f64 v[228:229], v[22:23], v[238:239]
	;; [unrolled: 1-line block ×3, first 2 shown]
	v_fmac_f64_e32 v[214:215], -0.5, v[22:23]
	v_add_f64 v[22:23], v[204:205], -v[236:237]
	v_add_f64 v[4:5], v[4:5], v[232:233]
	v_fma_f64 v[232:233], s[12:13], v[22:23], v[214:215]
	v_fmac_f64_e32 v[214:215], s[10:11], v[22:23]
	v_add_f64 v[22:23], v[208:209], v[222:223]
	v_add_f64 v[234:235], v[22:23], v[242:243]
	v_add_f64 v[22:23], v[222:223], v[242:243]
	v_fmac_f64_e32 v[208:209], -0.5, v[22:23]
	v_add_f64 v[22:23], v[240:241], -v[244:245]
	v_fma_f64 v[238:239], s[10:11], v[22:23], v[208:209]
	v_fmac_f64_e32 v[208:209], s[12:13], v[22:23]
	v_add_f64 v[22:23], v[210:211], v[240:241]
	v_add_f64 v[236:237], v[22:23], v[244:245]
	v_add_f64 v[22:23], v[240:241], v[244:245]
	v_fmac_f64_e32 v[210:211], -0.5, v[22:23]
	v_add_f64 v[22:23], v[222:223], -v[242:243]
	;; [unrolled: 7-line block ×3, first 2 shown]
	v_fma_f64 v[196:197], s[10:11], v[22:23], v[188:189]
	v_fmac_f64_e32 v[188:189], s[12:13], v[22:23]
	v_add_f64 v[22:23], v[190:191], v[10:11]
	v_add_f64 v[10:11], v[10:11], v[14:15]
	v_fmac_f64_e32 v[190:191], -0.5, v[10:11]
	v_add_f64 v[10:11], v[246:247], -v[12:13]
	v_mul_f64 v[16:17], v[200:201], v[186:187]
	v_fmac_f64_e32 v[20:21], v[198:199], v[180:181]
	v_fma_f64 v[198:199], s[12:13], v[10:11], v[190:191]
	v_fmac_f64_e32 v[190:191], s[10:11], v[10:11]
	v_add_f64 v[10:11], v[192:193], v[206:207]
	v_fmac_f64_e32 v[16:17], v[202:203], v[184:185]
	v_add_f64 v[200:201], v[10:11], v[18:19]
	v_add_f64 v[10:11], v[206:207], v[18:19]
	v_fmac_f64_e32 v[192:193], -0.5, v[10:11]
	v_add_f64 v[10:11], v[16:17], -v[20:21]
	v_fma_f64 v[204:205], s[10:11], v[10:11], v[192:193]
	v_fmac_f64_e32 v[192:193], s[12:13], v[10:11]
	v_add_f64 v[10:11], v[194:195], v[16:17]
	v_add_f64 v[202:203], v[10:11], v[20:21]
	;; [unrolled: 1-line block ×3, first 2 shown]
	v_fmac_f64_e32 v[194:195], -0.5, v[10:11]
	v_add_f64 v[10:11], v[206:207], -v[18:19]
	v_fma_f64 v[206:207], s[12:13], v[10:11], v[194:195]
	v_fmac_f64_e32 v[194:195], s[10:11], v[10:11]
	ds_write_b128 v253, v[2:5]
	v_lshl_add_u32 v2, v250, 4, v24
	s_movk_i32 s10, 0x1000
	v_add_f64 v[222:223], v[22:23], v[14:15]
	ds_write_b128 v2, v[6:9] offset:2400
	ds_write_b128 v2, v[216:219] offset:4800
	;; [unrolled: 1-line block ×14, first 2 shown]
	v_lshl_add_u64 v[208:209], v[224:225], 0, s[0:1]
	v_add_co_u32_e64 v8, s[0:1], s10, v224
	s_waitcnt lgkmcnt(0)
	s_nop 0
	v_addc_co_u32_e64 v9, s[0:1], 0, v225, s[0:1]
	s_barrier
	global_load_dwordx4 v[210:213], v[8:9], off offset:3104
	ds_read_b128 v[4:7], v253
	s_movk_i32 s0, 0x2000
	v_mov_b32_e32 v3, v24
	s_waitcnt vmcnt(0) lgkmcnt(0)
	v_mul_f64 v[8:9], v[6:7], v[212:213]
	v_mul_f64 v[216:217], v[4:5], v[212:213]
	v_fma_f64 v[214:215], v[4:5], v[210:211], -v[8:9]
	v_fmac_f64_e32 v[216:217], v[6:7], v[210:211]
	global_load_dwordx4 v[210:213], v[208:209], off offset:720
	ds_read_b128 v[4:7], v253 offset:720
	ds_write_b128 v253, v[214:217]
	s_waitcnt vmcnt(0) lgkmcnt(1)
	v_mul_f64 v[8:9], v[6:7], v[212:213]
	v_mul_f64 v[216:217], v[4:5], v[212:213]
	v_fma_f64 v[214:215], v[4:5], v[210:211], -v[8:9]
	v_fmac_f64_e32 v[216:217], v[6:7], v[210:211]
	global_load_dwordx4 v[210:213], v[208:209], off offset:1440
	ds_read_b128 v[4:7], v253 offset:1440
	ds_write_b128 v253, v[214:217] offset:720
	s_waitcnt vmcnt(0) lgkmcnt(1)
	v_mul_f64 v[8:9], v[6:7], v[212:213]
	v_mul_f64 v[216:217], v[4:5], v[212:213]
	v_fma_f64 v[214:215], v[4:5], v[210:211], -v[8:9]
	v_fmac_f64_e32 v[216:217], v[6:7], v[210:211]
	global_load_dwordx4 v[210:213], v[208:209], off offset:2160
	ds_read_b128 v[4:7], v253 offset:2160
	ds_write_b128 v253, v[214:217] offset:1440
	s_waitcnt vmcnt(0) lgkmcnt(1)
	v_mul_f64 v[8:9], v[6:7], v[212:213]
	v_mul_f64 v[216:217], v[4:5], v[212:213]
	v_fma_f64 v[214:215], v[4:5], v[210:211], -v[8:9]
	v_fmac_f64_e32 v[216:217], v[6:7], v[210:211]
	global_load_dwordx4 v[210:213], v[208:209], off offset:2880
	ds_read_b128 v[4:7], v253 offset:2880
	ds_write_b128 v253, v[214:217] offset:2160
	s_waitcnt vmcnt(0) lgkmcnt(1)
	v_mul_f64 v[8:9], v[6:7], v[212:213]
	v_mul_f64 v[216:217], v[4:5], v[212:213]
	v_fma_f64 v[214:215], v[4:5], v[210:211], -v[8:9]
	v_fmac_f64_e32 v[216:217], v[6:7], v[210:211]
	global_load_dwordx4 v[210:213], v[208:209], off offset:3600
	ds_read_b128 v[4:7], v253 offset:3600
	ds_write_b128 v253, v[214:217] offset:2880
	s_waitcnt vmcnt(0) lgkmcnt(1)
	v_mul_f64 v[8:9], v[6:7], v[212:213]
	v_fma_f64 v[214:215], v[4:5], v[210:211], -v[8:9]
	v_add_co_u32_e64 v8, s[0:1], s0, v224
	v_mul_f64 v[216:217], v[4:5], v[212:213]
	s_nop 0
	v_addc_co_u32_e64 v9, s[0:1], 0, v225, s[0:1]
	v_fmac_f64_e32 v[216:217], v[6:7], v[210:211]
	global_load_dwordx4 v[210:213], v[8:9], off offset:3328
	ds_read_b128 v[4:7], v253 offset:4320
	ds_write_b128 v253, v[214:217] offset:3600
	s_movk_i32 s0, 0x3000
	s_waitcnt vmcnt(0) lgkmcnt(1)
	v_mul_f64 v[10:11], v[6:7], v[212:213]
	v_mul_f64 v[216:217], v[4:5], v[212:213]
	v_fma_f64 v[214:215], v[4:5], v[210:211], -v[10:11]
	v_fmac_f64_e32 v[216:217], v[6:7], v[210:211]
	global_load_dwordx4 v[210:213], v[8:9], off offset:4048
	ds_read_b128 v[4:7], v253 offset:5040
	ds_write_b128 v253, v[214:217] offset:4320
	s_waitcnt vmcnt(0) lgkmcnt(1)
	v_mul_f64 v[8:9], v[6:7], v[212:213]
	v_fma_f64 v[214:215], v[4:5], v[210:211], -v[8:9]
	v_add_co_u32_e64 v8, s[0:1], s0, v224
	v_mul_f64 v[216:217], v[4:5], v[212:213]
	s_nop 0
	v_addc_co_u32_e64 v9, s[0:1], 0, v225, s[0:1]
	v_fmac_f64_e32 v[216:217], v[6:7], v[210:211]
	global_load_dwordx4 v[210:213], v[8:9], off offset:672
	ds_read_b128 v[4:7], v253 offset:5760
	ds_write_b128 v253, v[214:217] offset:5040
	s_waitcnt vmcnt(0) lgkmcnt(1)
	v_mul_f64 v[10:11], v[6:7], v[212:213]
	v_mul_f64 v[216:217], v[4:5], v[212:213]
	v_fma_f64 v[214:215], v[4:5], v[210:211], -v[10:11]
	v_fmac_f64_e32 v[216:217], v[6:7], v[210:211]
	global_load_dwordx4 v[210:213], v[8:9], off offset:1392
	ds_read_b128 v[4:7], v253 offset:6480
	ds_write_b128 v253, v[214:217] offset:5760
	s_waitcnt vmcnt(0) lgkmcnt(1)
	v_mul_f64 v[8:9], v[6:7], v[212:213]
	v_mul_f64 v[216:217], v[4:5], v[212:213]
	v_fma_f64 v[214:215], v[4:5], v[210:211], -v[8:9]
	v_fmac_f64_e32 v[216:217], v[6:7], v[210:211]
	ds_write_b128 v253, v[214:217] offset:6480
	s_and_saveexec_b64 s[8:9], vcc
	s_cbranch_execz .LBB0_9
; %bb.8:
	global_load_dwordx4 v[210:213], v[208:209], off offset:480
	ds_read_b128 v[4:7], v2 offset:480
	s_waitcnt vmcnt(0) lgkmcnt(0)
	v_mul_f64 v[8:9], v[6:7], v[212:213]
	v_mul_f64 v[216:217], v[4:5], v[212:213]
	v_fma_f64 v[214:215], v[4:5], v[210:211], -v[8:9]
	v_fmac_f64_e32 v[216:217], v[6:7], v[210:211]
	global_load_dwordx4 v[210:213], v[208:209], off offset:1200
	ds_read_b128 v[4:7], v2 offset:1200
	ds_write_b128 v2, v[214:217] offset:480
	s_waitcnt vmcnt(0) lgkmcnt(1)
	v_mul_f64 v[8:9], v[6:7], v[212:213]
	v_mul_f64 v[216:217], v[4:5], v[212:213]
	v_fma_f64 v[214:215], v[4:5], v[210:211], -v[8:9]
	v_fmac_f64_e32 v[216:217], v[6:7], v[210:211]
	global_load_dwordx4 v[210:213], v[208:209], off offset:1920
	ds_read_b128 v[4:7], v2 offset:1920
	ds_write_b128 v2, v[214:217] offset:1200
	;; [unrolled: 8-line block ×5, first 2 shown]
	s_waitcnt vmcnt(0) lgkmcnt(1)
	v_mul_f64 v[8:9], v[6:7], v[212:213]
	v_fma_f64 v[214:215], v[4:5], v[210:211], -v[8:9]
	v_add_co_u32_e64 v8, s[0:1], s10, v208
	v_mul_f64 v[216:217], v[4:5], v[212:213]
	s_nop 0
	v_addc_co_u32_e64 v9, s[0:1], 0, v209, s[0:1]
	v_fmac_f64_e32 v[216:217], v[6:7], v[210:211]
	global_load_dwordx4 v[208:211], v[8:9], off offset:704
	ds_read_b128 v[4:7], v2 offset:4800
	ds_write_b128 v2, v[214:217] offset:4080
	s_waitcnt vmcnt(0) lgkmcnt(1)
	v_mul_f64 v[10:11], v[6:7], v[210:211]
	v_mul_f64 v[214:215], v[4:5], v[210:211]
	v_fma_f64 v[212:213], v[4:5], v[208:209], -v[10:11]
	v_fmac_f64_e32 v[214:215], v[6:7], v[208:209]
	global_load_dwordx4 v[208:211], v[8:9], off offset:1424
	ds_read_b128 v[4:7], v2 offset:5520
	ds_write_b128 v2, v[212:215] offset:4800
	s_waitcnt vmcnt(0) lgkmcnt(1)
	v_mul_f64 v[10:11], v[6:7], v[210:211]
	v_mul_f64 v[214:215], v[4:5], v[210:211]
	v_fma_f64 v[212:213], v[4:5], v[208:209], -v[10:11]
	;; [unrolled: 8-line block ×4, first 2 shown]
	v_fmac_f64_e32 v[214:215], v[6:7], v[208:209]
	ds_write_b128 v2, v[212:215] offset:6960
.LBB0_9:
	s_or_b64 exec, exec, s[8:9]
	s_waitcnt lgkmcnt(0)
	s_barrier
	ds_read_b128 v[208:211], v253
	ds_read_b128 v[212:215], v253 offset:720
	ds_read_b128 v[232:235], v253 offset:1440
	ds_read_b128 v[216:219], v253 offset:2160
	ds_read_b128 v[236:239], v253 offset:2880
	ds_read_b128 v[220:223], v253 offset:3600
	ds_read_b128 v[240:243], v253 offset:4320
	ds_read_b128 v[224:227], v253 offset:5040
	ds_read_b128 v[244:247], v253 offset:5760
	ds_read_b128 v[228:231], v253 offset:6480
	s_and_saveexec_b64 s[0:1], vcc
	s_cbranch_execz .LBB0_11
; %bb.10:
	ds_read_b128 v[196:199], v2 offset:480
	ds_read_b128 v[188:191], v2 offset:1200
	;; [unrolled: 1-line block ×10, first 2 shown]
.LBB0_11:
	s_or_b64 exec, exec, s[0:1]
	v_add_u32_e32 v4, 0x780, v253
	v_accvgpr_write_b32 a39, v4
	s_waitcnt lgkmcnt(7)
	v_add_f64 v[4:5], v[208:209], v[232:233]
	s_waitcnt lgkmcnt(5)
	v_add_f64 v[4:5], v[4:5], v[236:237]
	;; [unrolled: 2-line block ×4, first 2 shown]
	v_add_f64 v[4:5], v[236:237], v[240:241]
	s_mov_b32 s8, 0x134454ff
	v_fma_f64 v[10:11], -0.5, v[4:5], v[208:209]
	v_add_f64 v[4:5], v[234:235], -v[246:247]
	s_mov_b32 s9, 0xbfee6f0e
	s_mov_b32 s0, 0x4755a5e
	s_mov_b32 s13, 0x3fee6f0e
	s_mov_b32 s12, s8
	v_fma_f64 v[12:13], s[8:9], v[4:5], v[10:11]
	v_add_f64 v[6:7], v[238:239], -v[242:243]
	s_mov_b32 s1, 0xbfe2cf23
	v_add_f64 v[14:15], v[232:233], -v[236:237]
	v_add_f64 v[16:17], v[244:245], -v[240:241]
	s_mov_b32 s10, 0x372fe950
	v_fmac_f64_e32 v[10:11], s[12:13], v[4:5]
	s_mov_b32 s15, 0x3fe2cf23
	s_mov_b32 s14, s0
	v_fmac_f64_e32 v[12:13], s[0:1], v[6:7]
	v_add_f64 v[14:15], v[14:15], v[16:17]
	s_mov_b32 s11, 0x3fd3c6ef
	v_fmac_f64_e32 v[10:11], s[14:15], v[6:7]
	v_fmac_f64_e32 v[12:13], s[10:11], v[14:15]
	;; [unrolled: 1-line block ×3, first 2 shown]
	v_add_f64 v[14:15], v[232:233], v[244:245]
	v_fmac_f64_e32 v[208:209], -0.5, v[14:15]
	v_fma_f64 v[14:15], s[12:13], v[6:7], v[208:209]
	v_fmac_f64_e32 v[208:209], s[8:9], v[6:7]
	v_fmac_f64_e32 v[14:15], s[0:1], v[4:5]
	;; [unrolled: 1-line block ×3, first 2 shown]
	v_add_f64 v[4:5], v[210:211], v[234:235]
	v_add_f64 v[16:17], v[236:237], -v[232:233]
	v_add_f64 v[18:19], v[240:241], -v[244:245]
	v_add_f64 v[4:5], v[4:5], v[238:239]
	v_add_f64 v[16:17], v[16:17], v[18:19]
	;; [unrolled: 1-line block ×3, first 2 shown]
	v_fmac_f64_e32 v[14:15], s[10:11], v[16:17]
	v_fmac_f64_e32 v[208:209], s[10:11], v[16:17]
	v_add_f64 v[16:17], v[4:5], v[246:247]
	v_add_f64 v[4:5], v[238:239], v[242:243]
	v_fma_f64 v[18:19], -0.5, v[4:5], v[210:211]
	v_add_f64 v[4:5], v[232:233], -v[244:245]
	v_fma_f64 v[20:21], s[12:13], v[4:5], v[18:19]
	v_add_f64 v[6:7], v[236:237], -v[240:241]
	v_add_f64 v[22:23], v[234:235], -v[238:239]
	;; [unrolled: 1-line block ×3, first 2 shown]
	v_fmac_f64_e32 v[18:19], s[8:9], v[4:5]
	v_fmac_f64_e32 v[20:21], s[14:15], v[6:7]
	v_add_f64 v[22:23], v[22:23], v[232:233]
	v_fmac_f64_e32 v[18:19], s[0:1], v[6:7]
	v_fmac_f64_e32 v[20:21], s[10:11], v[22:23]
	v_fmac_f64_e32 v[18:19], s[10:11], v[22:23]
	v_add_f64 v[22:23], v[234:235], v[246:247]
	v_fmac_f64_e32 v[210:211], -0.5, v[22:23]
	v_fma_f64 v[22:23], s[8:9], v[6:7], v[210:211]
	v_fmac_f64_e32 v[210:211], s[12:13], v[6:7]
	v_fmac_f64_e32 v[22:23], s[14:15], v[4:5]
	;; [unrolled: 1-line block ×3, first 2 shown]
	v_add_f64 v[4:5], v[212:213], v[216:217]
	v_add_f64 v[232:233], v[238:239], -v[234:235]
	v_add_f64 v[234:235], v[242:243], -v[246:247]
	v_add_f64 v[4:5], v[4:5], v[220:221]
	v_add_f64 v[232:233], v[232:233], v[234:235]
	;; [unrolled: 1-line block ×3, first 2 shown]
	v_fmac_f64_e32 v[22:23], s[10:11], v[232:233]
	v_fmac_f64_e32 v[210:211], s[10:11], v[232:233]
	s_waitcnt lgkmcnt(0)
	v_add_f64 v[232:233], v[4:5], v[228:229]
	v_add_f64 v[4:5], v[220:221], v[224:225]
	v_fma_f64 v[234:235], -0.5, v[4:5], v[212:213]
	v_add_f64 v[4:5], v[218:219], -v[230:231]
	v_fma_f64 v[236:237], s[8:9], v[4:5], v[234:235]
	v_add_f64 v[6:7], v[222:223], -v[226:227]
	v_add_f64 v[238:239], v[216:217], -v[220:221]
	;; [unrolled: 1-line block ×3, first 2 shown]
	v_fmac_f64_e32 v[234:235], s[12:13], v[4:5]
	v_fmac_f64_e32 v[236:237], s[0:1], v[6:7]
	v_add_f64 v[238:239], v[238:239], v[240:241]
	v_fmac_f64_e32 v[234:235], s[14:15], v[6:7]
	v_fmac_f64_e32 v[236:237], s[10:11], v[238:239]
	;; [unrolled: 1-line block ×3, first 2 shown]
	v_add_f64 v[238:239], v[216:217], v[228:229]
	v_fmac_f64_e32 v[212:213], -0.5, v[238:239]
	v_fma_f64 v[238:239], s[12:13], v[6:7], v[212:213]
	v_fmac_f64_e32 v[212:213], s[8:9], v[6:7]
	v_fmac_f64_e32 v[238:239], s[0:1], v[4:5]
	;; [unrolled: 1-line block ×3, first 2 shown]
	v_add_f64 v[4:5], v[214:215], v[218:219]
	v_add_f64 v[4:5], v[4:5], v[222:223]
	v_add_f64 v[240:241], v[220:221], -v[216:217]
	v_add_f64 v[242:243], v[224:225], -v[228:229]
	v_add_f64 v[4:5], v[4:5], v[226:227]
	v_add_f64 v[240:241], v[240:241], v[242:243]
	;; [unrolled: 1-line block ×4, first 2 shown]
	v_fmac_f64_e32 v[238:239], s[10:11], v[240:241]
	v_fmac_f64_e32 v[212:213], s[10:11], v[240:241]
	v_fma_f64 v[240:241], -0.5, v[4:5], v[214:215]
	v_add_f64 v[4:5], v[216:217], -v[228:229]
	v_fma_f64 v[244:245], s[12:13], v[4:5], v[240:241]
	v_add_f64 v[6:7], v[220:221], -v[224:225]
	v_add_f64 v[216:217], v[218:219], -v[222:223]
	;; [unrolled: 1-line block ×3, first 2 shown]
	v_fmac_f64_e32 v[240:241], s[8:9], v[4:5]
	v_fmac_f64_e32 v[244:245], s[14:15], v[6:7]
	v_add_f64 v[216:217], v[216:217], v[220:221]
	v_fmac_f64_e32 v[240:241], s[0:1], v[6:7]
	v_fmac_f64_e32 v[244:245], s[10:11], v[216:217]
	;; [unrolled: 1-line block ×3, first 2 shown]
	v_add_f64 v[216:217], v[218:219], v[230:231]
	v_fmac_f64_e32 v[214:215], -0.5, v[216:217]
	v_fma_f64 v[246:247], s[8:9], v[6:7], v[214:215]
	v_add_f64 v[216:217], v[222:223], -v[218:219]
	v_add_f64 v[218:219], v[226:227], -v[230:231]
	v_fmac_f64_e32 v[214:215], s[12:13], v[6:7]
	v_fmac_f64_e32 v[246:247], s[14:15], v[4:5]
	v_add_f64 v[216:217], v[216:217], v[218:219]
	v_fmac_f64_e32 v[214:215], s[0:1], v[4:5]
	s_mov_b32 s16, 0x9b97f4a8
	v_fmac_f64_e32 v[246:247], s[10:11], v[216:217]
	v_fmac_f64_e32 v[214:215], s[10:11], v[216:217]
	s_mov_b32 s17, 0x3fe9e377
	s_mov_b32 s19, 0xbfd3c6ef
	;; [unrolled: 1-line block ×5, first 2 shown]
	v_mul_f64 v[32:33], v[236:237], s[14:15]
	v_mul_f64 v[24:25], v[244:245], s[0:1]
	;; [unrolled: 1-line block ×5, first 2 shown]
	v_fmac_f64_e32 v[32:33], s[16:17], v[244:245]
	v_mul_f64 v[34:35], v[246:247], s[10:11]
	v_mul_f64 v[244:245], v[214:215], s[18:19]
	;; [unrolled: 1-line block ×3, first 2 shown]
	v_add_f64 v[4:5], v[8:9], v[232:233]
	v_fmac_f64_e32 v[24:25], s[16:17], v[236:237]
	v_fmac_f64_e32 v[26:27], s[10:11], v[238:239]
	;; [unrolled: 1-line block ×4, first 2 shown]
	v_add_f64 v[6:7], v[16:17], v[242:243]
	v_fmac_f64_e32 v[34:35], s[12:13], v[238:239]
	v_fmac_f64_e32 v[244:245], s[12:13], v[212:213]
	;; [unrolled: 1-line block ×3, first 2 shown]
	v_add_f64 v[216:217], v[12:13], v[24:25]
	v_add_f64 v[220:221], v[14:15], v[26:27]
	;; [unrolled: 1-line block ×8, first 2 shown]
	v_add_f64 v[212:213], v[8:9], -v[232:233]
	v_add_f64 v[232:233], v[12:13], -v[24:25]
	;; [unrolled: 1-line block ×10, first 2 shown]
	s_barrier
	ds_write_b128 v255, v[4:7]
	ds_write_b128 v255, v[216:219] offset:16
	ds_write_b128 v255, v[220:223] offset:32
	;; [unrolled: 1-line block ×9, first 2 shown]
	s_and_saveexec_b64 s[20:21], vcc
	s_cbranch_execz .LBB0_13
; %bb.12:
	v_add_f64 v[4:5], v[202:203], -v[194:195]
	v_add_f64 v[6:7], v[54:55], -v[46:47]
	v_add_f64 v[4:5], v[4:5], v[6:7]
	v_add_f64 v[6:7], v[194:195], v[46:47]
	v_fma_f64 v[8:9], -0.5, v[6:7], v[198:199]
	v_add_f64 v[10:11], v[200:201], -v[52:53]
	v_fma_f64 v[12:13], s[8:9], v[10:11], v[8:9]
	v_add_f64 v[14:15], v[192:193], -v[44:45]
	v_fmac_f64_e32 v[8:9], s[12:13], v[10:11]
	v_fmac_f64_e32 v[12:13], s[0:1], v[14:15]
	v_add_f64 v[6:7], v[204:205], -v[40:41]
	v_add_f64 v[16:17], v[56:57], -v[48:49]
	v_fmac_f64_e32 v[8:9], s[14:15], v[14:15]
	v_fmac_f64_e32 v[12:13], s[10:11], v[4:5]
	v_add_f64 v[16:17], v[6:7], v[16:17]
	v_add_f64 v[6:7], v[40:41], v[48:49]
	v_add_f64 v[208:209], v[194:195], -v[202:203]
	v_add_f64 v[210:211], v[46:47], -v[54:55]
	v_fmac_f64_e32 v[8:9], s[10:11], v[4:5]
	v_add_f64 v[4:5], v[198:199], v[202:203]
	v_fma_f64 v[18:19], -0.5, v[6:7], v[188:189]
	v_add_f64 v[6:7], v[206:207], -v[42:43]
	v_add_f64 v[26:27], v[58:59], -v[50:51]
	v_add_f64 v[210:211], v[208:209], v[210:211]
	v_add_f64 v[208:209], v[202:203], v[54:55]
	;; [unrolled: 1-line block ×5, first 2 shown]
	v_fma_f64 v[220:221], -0.5, v[208:209], v[198:199]
	v_add_f64 v[208:209], v[40:41], -v[204:205]
	v_add_f64 v[212:213], v[48:49], -v[56:57]
	v_add_f64 v[4:5], v[4:5], v[46:47]
	v_add_f64 v[20:21], v[206:207], -v[58:59]
	v_fma_f64 v[28:29], -0.5, v[6:7], v[190:191]
	v_add_f64 v[30:31], v[204:205], -v[56:57]
	v_fma_f64 v[222:223], s[12:13], v[14:15], v[220:221]
	v_add_f64 v[212:213], v[208:209], v[212:213]
	v_add_f64 v[208:209], v[204:205], v[56:57]
	v_fmac_f64_e32 v[220:221], s[8:9], v[14:15]
	v_add_f64 v[14:15], v[4:5], v[54:55]
	v_add_f64 v[4:5], v[190:191], v[206:207]
	v_fma_f64 v[22:23], s[12:13], v[20:21], v[18:19]
	v_add_f64 v[24:25], v[42:43], -v[50:51]
	v_fma_f64 v[32:33], s[8:9], v[30:31], v[28:29]
	v_add_f64 v[34:35], v[40:41], -v[48:49]
	v_fma_f64 v[214:215], -0.5, v[208:209], v[188:189]
	v_fmac_f64_e32 v[18:19], s[8:9], v[20:21]
	v_add_f64 v[4:5], v[4:5], v[42:43]
	v_fmac_f64_e32 v[22:23], s[14:15], v[24:25]
	v_fmac_f64_e32 v[32:33], s[0:1], v[34:35]
	v_fma_f64 v[224:225], s[8:9], v[24:25], v[214:215]
	v_add_f64 v[208:209], v[42:43], -v[206:207]
	v_add_f64 v[216:217], v[50:51], -v[58:59]
	v_fmac_f64_e32 v[214:215], s[12:13], v[24:25]
	v_fmac_f64_e32 v[18:19], s[0:1], v[24:25]
	v_add_f64 v[4:5], v[4:5], v[50:51]
	v_fmac_f64_e32 v[22:23], s[10:11], v[16:17]
	v_fmac_f64_e32 v[32:33], s[10:11], v[26:27]
	;; [unrolled: 1-line block ×3, first 2 shown]
	v_add_f64 v[216:217], v[208:209], v[216:217]
	v_add_f64 v[208:209], v[206:207], v[58:59]
	v_fmac_f64_e32 v[214:215], s[0:1], v[20:21]
	v_fmac_f64_e32 v[18:19], s[10:11], v[16:17]
	;; [unrolled: 1-line block ×3, first 2 shown]
	v_add_f64 v[16:17], v[4:5], v[58:59]
	v_add_f64 v[4:5], v[200:201], -v[192:193]
	v_add_f64 v[20:21], v[52:53], -v[44:45]
	v_mul_f64 v[218:219], v[32:33], s[22:23]
	v_fma_f64 v[226:227], -0.5, v[208:209], v[190:191]
	v_fmac_f64_e32 v[28:29], s[14:15], v[34:35]
	v_add_f64 v[20:21], v[4:5], v[20:21]
	v_add_f64 v[4:5], v[192:193], v[44:45]
	v_mul_f64 v[32:33], v[32:33], s[0:1]
	v_fmac_f64_e32 v[218:219], s[14:15], v[22:23]
	v_fma_f64 v[228:229], s[12:13], v[34:35], v[226:227]
	v_fmac_f64_e32 v[226:227], s[8:9], v[34:35]
	v_fmac_f64_e32 v[28:29], s[10:11], v[26:27]
	v_fma_f64 v[24:25], -0.5, v[4:5], v[196:197]
	v_add_f64 v[26:27], v[202:203], -v[54:55]
	v_add_f64 v[34:35], v[194:195], -v[46:47]
	v_fmac_f64_e32 v[32:33], s[22:23], v[22:23]
	v_add_f64 v[22:23], v[192:193], -v[200:201]
	v_add_f64 v[46:47], v[44:45], -v[52:53]
	v_fmac_f64_e32 v[228:229], s[0:1], v[30:31]
	v_fmac_f64_e32 v[226:227], s[14:15], v[30:31]
	v_fma_f64 v[30:31], s[12:13], v[26:27], v[24:25]
	v_add_f64 v[22:23], v[22:23], v[46:47]
	v_add_f64 v[46:47], v[200:201], v[52:53]
	v_fmac_f64_e32 v[24:25], s[8:9], v[26:27]
	v_fmac_f64_e32 v[30:31], s[14:15], v[34:35]
	v_fma_f64 v[194:195], -0.5, v[46:47], v[196:197]
	v_fmac_f64_e32 v[24:25], s[0:1], v[34:35]
	v_fmac_f64_e32 v[30:31], s[10:11], v[20:21]
	v_fma_f64 v[198:199], s[8:9], v[34:35], v[194:195]
	v_fmac_f64_e32 v[194:195], s[12:13], v[34:35]
	v_fmac_f64_e32 v[24:25], s[10:11], v[20:21]
	v_mul_f64 v[20:21], v[28:29], s[0:1]
	v_fmac_f64_e32 v[222:223], s[0:1], v[10:11]
	v_fmac_f64_e32 v[220:221], s[14:15], v[10:11]
	v_mul_f64 v[10:11], v[18:19], s[14:15]
	v_fmac_f64_e32 v[198:199], s[14:15], v[26:27]
	v_fmac_f64_e32 v[194:195], s[0:1], v[26:27]
	v_fmac_f64_e32 v[20:21], s[16:17], v[18:19]
	v_add_f64 v[18:19], v[196:197], v[200:201]
	v_add_f64 v[26:27], v[188:189], v[204:205]
	;; [unrolled: 1-line block ×4, first 2 shown]
	v_fmac_f64_e32 v[228:229], s[10:11], v[216:217]
	v_fmac_f64_e32 v[226:227], s[10:11], v[216:217]
	;; [unrolled: 1-line block ×3, first 2 shown]
	v_add_f64 v[18:19], v[18:19], v[44:45]
	v_add_f64 v[26:27], v[26:27], v[48:49]
	v_fmac_f64_e32 v[224:225], s[10:11], v[212:213]
	v_mul_f64 v[230:231], v[228:229], s[18:19]
	v_fmac_f64_e32 v[214:215], s[10:11], v[212:213]
	v_mul_f64 v[232:233], v[226:227], s[10:11]
	v_add_f64 v[216:217], v[8:9], -v[10:11]
	v_fmac_f64_e32 v[198:199], s[10:11], v[22:23]
	v_mul_f64 v[202:203], v[228:229], s[8:9]
	v_fmac_f64_e32 v[194:195], s[10:11], v[22:23]
	v_mul_f64 v[22:23], v[226:227], s[8:9]
	v_add_f64 v[18:19], v[18:19], v[52:53]
	v_add_f64 v[26:27], v[26:27], v[56:57]
	;; [unrolled: 1-line block ×3, first 2 shown]
	v_accvgpr_read_b32 v8, a36
	v_fmac_f64_e32 v[222:223], s[10:11], v[210:211]
	v_fmac_f64_e32 v[230:231], s[12:13], v[224:225]
	;; [unrolled: 1-line block ×6, first 2 shown]
	v_add_f64 v[190:191], v[14:15], v[16:17]
	v_add_f64 v[188:189], v[18:19], v[26:27]
	v_lshl_add_u32 v3, v8, 4, v3
	v_add_f64 v[6:7], v[12:13], -v[218:219]
	v_add_f64 v[208:209], v[222:223], -v[230:231]
	v_add_f64 v[212:213], v[220:221], -v[232:233]
	v_add_f64 v[42:43], v[14:15], -v[16:17]
	v_add_f64 v[4:5], v[30:31], -v[32:33]
	v_add_f64 v[206:207], v[198:199], -v[202:203]
	v_add_f64 v[210:211], v[194:195], -v[22:23]
	v_add_f64 v[214:215], v[24:25], -v[20:21]
	v_add_f64 v[40:41], v[18:19], -v[26:27]
	v_add_f64 v[46:47], v[12:13], v[218:219]
	v_add_f64 v[50:51], v[222:223], v[230:231]
	;; [unrolled: 1-line block ×7, first 2 shown]
	ds_write_b128 v3, v[188:191]
	ds_write_b128 v3, v[56:59] offset:16
	ds_write_b128 v3, v[52:55] offset:32
	;; [unrolled: 1-line block ×9, first 2 shown]
.LBB0_13:
	s_or_b64 exec, exec, s[20:21]
	s_waitcnt lgkmcnt(0)
	s_barrier
	ds_read_b128 v[40:43], v253
	ds_read_b128 v[44:47], v253 offset:480
	ds_read_b128 v[4:7], v253 offset:2880
	;; [unrolled: 1-line block ×14, first 2 shown]
	s_waitcnt lgkmcnt(12)
	v_mul_f64 v[12:13], v[70:71], v[6:7]
	s_waitcnt lgkmcnt(11)
	v_mul_f64 v[24:25], v[86:87], v[54:55]
	v_fmac_f64_e32 v[12:13], v[68:69], v[4:5]
	v_mul_f64 v[4:5], v[70:71], v[4:5]
	v_fmac_f64_e32 v[24:25], v[84:85], v[52:53]
	v_mul_f64 v[26:27], v[86:87], v[52:53]
	s_waitcnt lgkmcnt(5)
	v_mul_f64 v[52:53], v[106:107], v[206:207]
	v_fma_f64 v[4:5], v[68:69], v[6:7], -v[4:5]
	v_fma_f64 v[68:69], v[104:105], v[208:209], -v[52:53]
	s_waitcnt lgkmcnt(3)
	v_mul_f64 v[52:53], v[102:103], v[214:215]
	v_mul_f64 v[8:9], v[74:75], v[200:201]
	;; [unrolled: 1-line block ×3, first 2 shown]
	v_fma_f64 v[70:71], v[100:101], v[216:217], -v[52:53]
	s_waitcnt lgkmcnt(1)
	v_mul_f64 v[52:53], v[98:99], v[222:223]
	v_fmac_f64_e32 v[8:9], v[72:73], v[198:199]
	v_fma_f64 v[10:11], v[72:73], v[200:201], -v[10:11]
	v_fma_f64 v[72:73], v[96:97], v[224:225], -v[52:53]
	s_waitcnt lgkmcnt(0)
	v_mul_f64 v[52:53], v[94:95], v[226:227]
	v_mul_f64 v[6:7], v[66:67], v[212:213]
	v_fma_f64 v[74:75], v[92:93], v[228:229], -v[52:53]
	v_add_f64 v[52:53], v[40:41], v[8:9]
	v_fmac_f64_e32 v[6:7], v[64:65], v[210:211]
	v_mul_f64 v[16:17], v[62:63], v[58:59]
	v_add_f64 v[52:53], v[52:53], v[12:13]
	v_fmac_f64_e32 v[16:17], v[60:61], v[56:57]
	v_mul_f64 v[18:19], v[62:63], v[56:57]
	v_add_f64 v[52:53], v[52:53], v[6:7]
	v_mul_f64 v[14:15], v[66:67], v[210:211]
	v_fma_f64 v[18:19], v[60:61], v[58:59], -v[18:19]
	v_add_f64 v[56:57], v[52:53], v[16:17]
	v_add_f64 v[52:53], v[12:13], v[6:7]
	v_fma_f64 v[14:15], v[64:65], v[212:213], -v[14:15]
	v_fma_f64 v[26:27], v[84:85], v[54:55], -v[26:27]
	v_fma_f64 v[52:53], -0.5, v[52:53], v[40:41]
	v_add_f64 v[54:55], v[10:11], -v[18:19]
	v_fma_f64 v[60:61], s[8:9], v[54:55], v[52:53]
	v_add_f64 v[58:59], v[4:5], -v[14:15]
	v_add_f64 v[62:63], v[8:9], -v[12:13]
	;; [unrolled: 1-line block ×3, first 2 shown]
	v_fmac_f64_e32 v[52:53], s[12:13], v[54:55]
	v_fmac_f64_e32 v[60:61], s[0:1], v[58:59]
	v_add_f64 v[62:63], v[62:63], v[64:65]
	v_fmac_f64_e32 v[52:53], s[14:15], v[58:59]
	v_fmac_f64_e32 v[60:61], s[10:11], v[62:63]
	;; [unrolled: 1-line block ×3, first 2 shown]
	v_add_f64 v[62:63], v[8:9], v[16:17]
	v_fmac_f64_e32 v[40:41], -0.5, v[62:63]
	v_fma_f64 v[64:65], s[12:13], v[58:59], v[40:41]
	v_fmac_f64_e32 v[40:41], s[8:9], v[58:59]
	v_fmac_f64_e32 v[64:65], s[0:1], v[54:55]
	;; [unrolled: 1-line block ×3, first 2 shown]
	v_add_f64 v[54:55], v[42:43], v[10:11]
	v_add_f64 v[54:55], v[54:55], v[4:5]
	;; [unrolled: 1-line block ×3, first 2 shown]
	v_add_f64 v[62:63], v[12:13], -v[8:9]
	v_add_f64 v[66:67], v[6:7], -v[16:17]
	v_add_f64 v[58:59], v[54:55], v[18:19]
	v_add_f64 v[54:55], v[4:5], v[14:15]
	;; [unrolled: 1-line block ×3, first 2 shown]
	v_fma_f64 v[54:55], -0.5, v[54:55], v[42:43]
	v_add_f64 v[8:9], v[8:9], -v[16:17]
	v_fmac_f64_e32 v[64:65], s[10:11], v[62:63]
	v_fmac_f64_e32 v[40:41], s[10:11], v[62:63]
	v_fma_f64 v[62:63], s[12:13], v[8:9], v[54:55]
	v_add_f64 v[6:7], v[12:13], -v[6:7]
	v_add_f64 v[12:13], v[10:11], -v[4:5]
	;; [unrolled: 1-line block ×3, first 2 shown]
	v_fmac_f64_e32 v[54:55], s[8:9], v[8:9]
	v_fmac_f64_e32 v[62:63], s[14:15], v[6:7]
	v_add_f64 v[12:13], v[12:13], v[16:17]
	v_fmac_f64_e32 v[54:55], s[0:1], v[6:7]
	v_mul_f64 v[28:29], v[82:83], v[220:221]
	v_fmac_f64_e32 v[62:63], s[10:11], v[12:13]
	v_fmac_f64_e32 v[54:55], s[10:11], v[12:13]
	v_add_f64 v[12:13], v[10:11], v[18:19]
	v_mul_f64 v[22:23], v[90:91], v[202:203]
	v_fmac_f64_e32 v[28:29], v[80:81], v[218:219]
	v_mul_f64 v[34:35], v[78:79], v[194:195]
	v_fmac_f64_e32 v[42:43], -0.5, v[12:13]
	v_mul_f64 v[20:21], v[90:91], v[204:205]
	v_fma_f64 v[22:23], v[88:89], v[204:205], -v[22:23]
	v_mul_f64 v[30:31], v[82:83], v[218:219]
	v_mul_f64 v[32:33], v[78:79], v[196:197]
	v_fma_f64 v[34:35], v[76:77], v[196:197], -v[34:35]
	v_fma_f64 v[66:67], s[8:9], v[6:7], v[42:43]
	v_fmac_f64_e32 v[42:43], s[12:13], v[6:7]
	v_add_f64 v[6:7], v[24:25], v[28:29]
	v_fmac_f64_e32 v[20:21], v[88:89], v[202:203]
	v_fma_f64 v[30:31], v[80:81], v[220:221], -v[30:31]
	v_fmac_f64_e32 v[32:33], v[76:77], v[194:195]
	v_add_f64 v[4:5], v[4:5], -v[10:11]
	v_add_f64 v[10:11], v[14:15], -v[18:19]
	v_fma_f64 v[84:85], -0.5, v[6:7], v[44:45]
	v_add_f64 v[6:7], v[22:23], -v[34:35]
	v_fmac_f64_e32 v[66:67], s[14:15], v[8:9]
	v_add_f64 v[4:5], v[4:5], v[10:11]
	v_fmac_f64_e32 v[42:43], s[0:1], v[8:9]
	v_fma_f64 v[88:89], s[8:9], v[6:7], v[84:85]
	v_add_f64 v[8:9], v[26:27], -v[30:31]
	v_add_f64 v[10:11], v[20:21], -v[24:25]
	;; [unrolled: 1-line block ×3, first 2 shown]
	v_fmac_f64_e32 v[84:85], s[12:13], v[6:7]
	v_fmac_f64_e32 v[88:89], s[0:1], v[8:9]
	v_add_f64 v[10:11], v[10:11], v[12:13]
	v_fmac_f64_e32 v[84:85], s[14:15], v[8:9]
	v_fmac_f64_e32 v[88:89], s[10:11], v[10:11]
	;; [unrolled: 1-line block ×3, first 2 shown]
	v_add_f64 v[10:11], v[20:21], v[32:33]
	v_mul_f64 v[82:83], v[94:95], v[228:229]
	v_fmac_f64_e32 v[66:67], s[10:11], v[4:5]
	v_fmac_f64_e32 v[42:43], s[10:11], v[4:5]
	v_add_f64 v[4:5], v[44:45], v[20:21]
	v_fmac_f64_e32 v[44:45], -0.5, v[10:11]
	v_fmac_f64_e32 v[82:83], v[92:93], v[226:227]
	v_fma_f64 v[92:93], s[12:13], v[8:9], v[44:45]
	v_add_f64 v[10:11], v[24:25], -v[20:21]
	v_add_f64 v[12:13], v[28:29], -v[32:33]
	v_fmac_f64_e32 v[44:45], s[8:9], v[8:9]
	v_add_f64 v[8:9], v[26:27], v[30:31]
	v_fmac_f64_e32 v[92:93], s[0:1], v[6:7]
	v_add_f64 v[10:11], v[10:11], v[12:13]
	v_fmac_f64_e32 v[44:45], s[14:15], v[6:7]
	v_fma_f64 v[86:87], -0.5, v[8:9], v[46:47]
	v_add_f64 v[8:9], v[20:21], -v[32:33]
	v_fmac_f64_e32 v[92:93], s[10:11], v[10:11]
	v_fmac_f64_e32 v[44:45], s[10:11], v[10:11]
	v_fma_f64 v[90:91], s[12:13], v[8:9], v[86:87]
	v_add_f64 v[10:11], v[24:25], -v[28:29]
	v_add_f64 v[12:13], v[22:23], -v[26:27]
	;; [unrolled: 1-line block ×3, first 2 shown]
	v_fmac_f64_e32 v[86:87], s[8:9], v[8:9]
	v_fmac_f64_e32 v[90:91], s[14:15], v[10:11]
	v_add_f64 v[12:13], v[12:13], v[14:15]
	v_fmac_f64_e32 v[86:87], s[0:1], v[10:11]
	v_fmac_f64_e32 v[90:91], s[10:11], v[12:13]
	;; [unrolled: 1-line block ×3, first 2 shown]
	v_add_f64 v[12:13], v[22:23], v[34:35]
	v_mul_f64 v[76:77], v[106:107], v[208:209]
	v_add_f64 v[6:7], v[46:47], v[22:23]
	v_fmac_f64_e32 v[46:47], -0.5, v[12:13]
	v_fmac_f64_e32 v[76:77], v[104:105], v[206:207]
	v_mul_f64 v[78:79], v[102:103], v[216:217]
	v_fma_f64 v[94:95], s[8:9], v[10:11], v[46:47]
	v_fmac_f64_e32 v[46:47], s[12:13], v[10:11]
	v_fmac_f64_e32 v[78:79], v[100:101], v[214:215]
	v_mul_f64 v[80:81], v[98:99], v[224:225]
	v_fmac_f64_e32 v[94:95], s[14:15], v[8:9]
	v_fmac_f64_e32 v[46:47], s[0:1], v[8:9]
	v_add_f64 v[8:9], v[48:49], v[76:77]
	v_fmac_f64_e32 v[80:81], v[96:97], v[222:223]
	v_add_f64 v[8:9], v[8:9], v[78:79]
	v_add_f64 v[8:9], v[8:9], v[80:81]
	v_add_f64 v[12:13], v[26:27], -v[22:23]
	v_add_f64 v[14:15], v[30:31], -v[34:35]
	v_add_f64 v[96:97], v[8:9], v[82:83]
	v_add_f64 v[8:9], v[78:79], v[80:81]
	;; [unrolled: 1-line block ×3, first 2 shown]
	v_fma_f64 v[100:101], -0.5, v[8:9], v[48:49]
	v_add_f64 v[8:9], v[68:69], -v[74:75]
	v_fmac_f64_e32 v[94:95], s[10:11], v[12:13]
	v_fmac_f64_e32 v[46:47], s[10:11], v[12:13]
	v_fma_f64 v[104:105], s[8:9], v[8:9], v[100:101]
	v_add_f64 v[10:11], v[70:71], -v[72:73]
	v_add_f64 v[12:13], v[76:77], -v[78:79]
	;; [unrolled: 1-line block ×3, first 2 shown]
	v_fmac_f64_e32 v[100:101], s[12:13], v[8:9]
	v_fmac_f64_e32 v[104:105], s[0:1], v[10:11]
	v_add_f64 v[12:13], v[12:13], v[14:15]
	v_fmac_f64_e32 v[100:101], s[14:15], v[10:11]
	v_fmac_f64_e32 v[104:105], s[10:11], v[12:13]
	;; [unrolled: 1-line block ×3, first 2 shown]
	v_add_f64 v[12:13], v[76:77], v[82:83]
	v_fmac_f64_e32 v[48:49], -0.5, v[12:13]
	v_fma_f64 v[194:195], s[12:13], v[10:11], v[48:49]
	v_fmac_f64_e32 v[48:49], s[8:9], v[10:11]
	v_fmac_f64_e32 v[194:195], s[0:1], v[8:9]
	;; [unrolled: 1-line block ×3, first 2 shown]
	v_add_f64 v[8:9], v[50:51], v[68:69]
	v_add_f64 v[8:9], v[8:9], v[70:71]
	;; [unrolled: 1-line block ×3, first 2 shown]
	v_add_f64 v[12:13], v[78:79], -v[76:77]
	v_add_f64 v[14:15], v[80:81], -v[82:83]
	v_add_f64 v[98:99], v[8:9], v[74:75]
	v_add_f64 v[8:9], v[70:71], v[72:73]
	;; [unrolled: 1-line block ×3, first 2 shown]
	v_fma_f64 v[102:103], -0.5, v[8:9], v[50:51]
	v_add_f64 v[8:9], v[76:77], -v[82:83]
	v_fmac_f64_e32 v[194:195], s[10:11], v[12:13]
	v_fmac_f64_e32 v[48:49], s[10:11], v[12:13]
	v_fma_f64 v[106:107], s[12:13], v[8:9], v[102:103]
	v_add_f64 v[10:11], v[78:79], -v[80:81]
	v_add_f64 v[12:13], v[68:69], -v[70:71]
	;; [unrolled: 1-line block ×3, first 2 shown]
	v_fmac_f64_e32 v[102:103], s[8:9], v[8:9]
	v_fmac_f64_e32 v[106:107], s[14:15], v[10:11]
	v_add_f64 v[12:13], v[12:13], v[14:15]
	v_fmac_f64_e32 v[102:103], s[0:1], v[10:11]
	v_fmac_f64_e32 v[106:107], s[10:11], v[12:13]
	;; [unrolled: 1-line block ×3, first 2 shown]
	v_add_f64 v[12:13], v[68:69], v[74:75]
	v_fmac_f64_e32 v[50:51], -0.5, v[12:13]
	v_add_f64 v[4:5], v[4:5], v[24:25]
	v_add_f64 v[6:7], v[6:7], v[26:27]
	v_fma_f64 v[196:197], s[8:9], v[10:11], v[50:51]
	v_add_f64 v[12:13], v[70:71], -v[68:69]
	v_add_f64 v[14:15], v[72:73], -v[74:75]
	v_fmac_f64_e32 v[50:51], s[12:13], v[10:11]
	v_add_f64 v[4:5], v[4:5], v[28:29]
	v_add_f64 v[6:7], v[6:7], v[30:31]
	;; [unrolled: 1-line block ×3, first 2 shown]
	v_fmac_f64_e32 v[50:51], s[0:1], v[8:9]
	v_add_f64 v[4:5], v[4:5], v[32:33]
	v_add_f64 v[6:7], v[6:7], v[34:35]
	v_fmac_f64_e32 v[196:197], s[14:15], v[8:9]
	v_fmac_f64_e32 v[50:51], s[10:11], v[12:13]
	;; [unrolled: 1-line block ×3, first 2 shown]
	s_barrier
	ds_write_b128 v254, v[56:59]
	ds_write_b128 v254, v[60:63] offset:160
	ds_write_b128 v254, v[64:67] offset:320
	ds_write_b128 v254, v[40:43] offset:480
	ds_write_b128 v254, v[52:55] offset:640
	ds_write_b128 v0, v[4:7]
	ds_write_b128 v0, v[88:91] offset:160
	ds_write_b128 v0, v[92:95] offset:320
	ds_write_b128 v0, v[44:47] offset:480
	ds_write_b128 v0, v[84:87] offset:640
	;; [unrolled: 5-line block ×3, first 2 shown]
	s_waitcnt lgkmcnt(0)
	s_barrier
	ds_read_b128 v[40:43], v253
	ds_read_b128 v[44:47], v253 offset:480
	ds_read_b128 v[4:7], v253 offset:4800
	;; [unrolled: 1-line block ×14, first 2 shown]
	s_waitcnt lgkmcnt(12)
	v_mul_f64 v[10:11], v[110:111], v[6:7]
	v_fmac_f64_e32 v[10:11], v[108:109], v[4:5]
	v_mul_f64 v[4:5], v[110:111], v[4:5]
	v_fma_f64 v[12:13], v[108:109], v[6:7], -v[4:5]
	s_waitcnt lgkmcnt(10)
	v_mul_f64 v[4:5], v[122:123], v[64:65]
	v_fma_f64 v[16:17], v[120:121], v[66:67], -v[4:5]
	v_mul_f64 v[4:5], v[118:119], v[60:61]
	v_fma_f64 v[20:21], v[116:117], v[62:63], -v[4:5]
	s_waitcnt lgkmcnt(9)
	v_mul_f64 v[4:5], v[130:131], v[68:69]
	v_fma_f64 v[24:25], v[128:129], v[70:71], -v[4:5]
	s_waitcnt lgkmcnt(6)
	;; [unrolled: 3-line block ×3, first 2 shown]
	v_mul_f64 v[4:5], v[138:139], v[84:85]
	v_mul_f64 v[0:1], v[114:115], v[82:83]
	v_fma_f64 v[32:33], v[136:137], v[86:87], -v[4:5]
	v_mul_f64 v[4:5], v[134:135], v[76:77]
	v_fmac_f64_e32 v[0:1], v[112:113], v[80:81]
	v_mul_f64 v[8:9], v[114:115], v[80:81]
	v_mul_f64 v[30:31], v[138:139], v[86:87]
	v_fma_f64 v[86:87], v[132:133], v[78:79], -v[4:5]
	s_waitcnt lgkmcnt(1)
	v_mul_f64 v[4:5], v[146:147], v[88:89]
	v_mov_b32_e32 v188, s2
	v_mov_b32_e32 v189, s3
	v_mad_u64_u32 v[190:191], s[2:3], s6, v252, 0
	v_fma_f64 v[8:9], v[112:113], v[82:83], -v[8:9]
	v_fma_f64 v[98:99], v[144:145], v[90:91], -v[4:5]
	s_waitcnt lgkmcnt(0)
	v_mul_f64 v[4:5], v[142:143], v[92:93]
	v_add_f64 v[6:7], v[0:1], v[10:11]
	s_mov_b32 s0, 0xe8584caa
	v_mul_f64 v[18:19], v[118:119], v[62:63]
	v_mul_f64 v[100:101], v[142:143], v[94:95]
	v_fma_f64 v[94:95], v[140:141], v[94:95], -v[4:5]
	v_add_f64 v[4:5], v[40:41], v[0:1]
	v_fmac_f64_e32 v[40:41], -0.5, v[6:7]
	v_add_f64 v[6:7], v[8:9], -v[12:13]
	s_mov_b32 s1, 0xbfebb67a
	s_mov_b32 s3, 0x3febb67a
	;; [unrolled: 1-line block ×3, first 2 shown]
	v_mul_f64 v[14:15], v[122:123], v[66:67]
	v_fmac_f64_e32 v[18:19], v[116:117], v[60:61]
	v_fma_f64 v[60:61], s[0:1], v[6:7], v[40:41]
	v_fmac_f64_e32 v[40:41], s[2:3], v[6:7]
	v_add_f64 v[6:7], v[42:43], v[8:9]
	v_add_f64 v[8:9], v[8:9], v[12:13]
	v_fmac_f64_e32 v[14:15], v[120:121], v[64:65]
	v_fmac_f64_e32 v[42:43], -0.5, v[8:9]
	v_add_f64 v[0:1], v[0:1], -v[10:11]
	v_fma_f64 v[62:63], s[2:3], v[0:1], v[42:43]
	v_fmac_f64_e32 v[42:43], s[0:1], v[0:1]
	v_add_f64 v[0:1], v[44:45], v[14:15]
	v_add_f64 v[64:65], v[0:1], v[18:19]
	v_add_f64 v[0:1], v[14:15], v[18:19]
	v_mul_f64 v[22:23], v[130:131], v[70:71]
	v_fmac_f64_e32 v[44:45], -0.5, v[0:1]
	v_add_f64 v[0:1], v[16:17], -v[20:21]
	v_fmac_f64_e32 v[22:23], v[128:129], v[68:69]
	v_fma_f64 v[68:69], s[0:1], v[0:1], v[44:45]
	v_fmac_f64_e32 v[44:45], s[2:3], v[0:1]
	v_add_f64 v[0:1], v[46:47], v[16:17]
	v_add_f64 v[66:67], v[0:1], v[20:21]
	v_add_f64 v[0:1], v[16:17], v[20:21]
	v_mul_f64 v[26:27], v[126:127], v[74:75]
	v_fmac_f64_e32 v[46:47], -0.5, v[0:1]
	v_add_f64 v[0:1], v[14:15], -v[18:19]
	v_fmac_f64_e32 v[26:27], v[124:125], v[72:73]
	;; [unrolled: 9-line block ×3, first 2 shown]
	v_fma_f64 v[76:77], s[0:1], v[0:1], v[48:49]
	v_fmac_f64_e32 v[48:49], s[2:3], v[0:1]
	v_add_f64 v[0:1], v[50:51], v[24:25]
	v_add_f64 v[74:75], v[0:1], v[28:29]
	;; [unrolled: 1-line block ×3, first 2 shown]
	v_fmac_f64_e32 v[30:31], v[136:137], v[84:85]
	v_fmac_f64_e32 v[50:51], -0.5, v[0:1]
	v_add_f64 v[0:1], v[22:23], -v[26:27]
	v_fma_f64 v[78:79], s[2:3], v[0:1], v[50:51]
	v_fmac_f64_e32 v[50:51], s[0:1], v[0:1]
	v_add_f64 v[0:1], v[52:53], v[30:31]
	v_add_f64 v[80:81], v[0:1], v[34:35]
	;; [unrolled: 1-line block ×3, first 2 shown]
	v_fmac_f64_e32 v[52:53], -0.5, v[0:1]
	v_add_f64 v[0:1], v[32:33], -v[86:87]
	v_fma_f64 v[84:85], s[0:1], v[0:1], v[52:53]
	v_fmac_f64_e32 v[52:53], s[2:3], v[0:1]
	v_add_f64 v[0:1], v[54:55], v[32:33]
	v_mul_f64 v[96:97], v[146:147], v[90:91]
	v_add_f64 v[82:83], v[0:1], v[86:87]
	v_add_f64 v[0:1], v[32:33], v[86:87]
	v_fmac_f64_e32 v[96:97], v[144:145], v[88:89]
	v_fmac_f64_e32 v[54:55], -0.5, v[0:1]
	v_add_f64 v[0:1], v[30:31], -v[34:35]
	v_fmac_f64_e32 v[100:101], v[140:141], v[92:93]
	v_fma_f64 v[86:87], s[2:3], v[0:1], v[54:55]
	v_fmac_f64_e32 v[54:55], s[0:1], v[0:1]
	v_add_f64 v[0:1], v[56:57], v[96:97]
	v_add_f64 v[88:89], v[0:1], v[100:101]
	;; [unrolled: 1-line block ×3, first 2 shown]
	v_fmac_f64_e32 v[56:57], -0.5, v[0:1]
	v_add_f64 v[0:1], v[98:99], -v[94:95]
	v_fma_f64 v[92:93], s[0:1], v[0:1], v[56:57]
	v_fmac_f64_e32 v[56:57], s[2:3], v[0:1]
	v_add_f64 v[0:1], v[58:59], v[98:99]
	v_add_f64 v[90:91], v[0:1], v[94:95]
	v_add_f64 v[0:1], v[98:99], v[94:95]
	v_fmac_f64_e32 v[58:59], -0.5, v[0:1]
	v_add_f64 v[0:1], v[96:97], -v[100:101]
	v_add_f64 v[4:5], v[4:5], v[10:11]
	v_add_f64 v[6:7], v[6:7], v[12:13]
	v_fma_f64 v[94:95], s[2:3], v[0:1], v[58:59]
	v_fmac_f64_e32 v[58:59], s[0:1], v[0:1]
	v_accvgpr_read_b32 v0, a37
	s_barrier
	ds_write_b128 v253, v[4:7]
	ds_write_b128 v253, v[60:63] offset:800
	ds_write_b128 v253, v[40:43] offset:1600
	ds_write_b128 v0, v[64:67]
	ds_write_b128 v0, v[68:71] offset:800
	ds_write_b128 v0, v[44:47] offset:1600
	;; [unrolled: 1-line block ×5, first 2 shown]
	v_accvgpr_read_b32 v0, a38
	ds_write_b128 v0, v[80:83]
	ds_write_b128 v0, v[84:87] offset:800
	ds_write_b128 v0, v[52:55] offset:1600
	;; [unrolled: 1-line block ×5, first 2 shown]
	s_waitcnt lgkmcnt(0)
	s_barrier
	ds_read_b128 v[40:43], v253
	ds_read_b128 v[44:47], v253 offset:480
	ds_read_b128 v[4:7], v253 offset:4800
	;; [unrolled: 1-line block ×14, first 2 shown]
	s_waitcnt lgkmcnt(12)
	v_mul_f64 v[14:15], v[150:151], v[6:7]
	v_fmac_f64_e32 v[14:15], v[148:149], v[4:5]
	v_mul_f64 v[4:5], v[150:151], v[4:5]
	v_fma_f64 v[16:17], v[148:149], v[6:7], -v[4:5]
	s_waitcnt lgkmcnt(10)
	v_mul_f64 v[4:5], v[162:163], v[60:61]
	v_fma_f64 v[20:21], v[160:161], v[62:63], -v[4:5]
	v_mul_f64 v[4:5], v[158:159], v[8:9]
	v_fma_f64 v[24:25], v[156:157], v[10:11], -v[4:5]
	s_waitcnt lgkmcnt(9)
	v_mul_f64 v[4:5], v[170:171], v[64:65]
	v_fma_f64 v[28:29], v[168:169], v[66:67], -v[4:5]
	s_waitcnt lgkmcnt(6)
	;; [unrolled: 3-line block ×3, first 2 shown]
	v_mul_f64 v[4:5], v[178:179], v[80:81]
	v_mul_f64 v[0:1], v[154:155], v[78:79]
	v_mul_f64 v[34:35], v[178:179], v[82:83]
	v_fma_f64 v[82:83], v[176:177], v[82:83], -v[4:5]
	v_mul_f64 v[4:5], v[174:175], v[72:73]
	v_fmac_f64_e32 v[0:1], v[152:153], v[76:77]
	v_mul_f64 v[12:13], v[154:155], v[76:77]
	v_fma_f64 v[94:95], v[172:173], v[74:75], -v[4:5]
	s_waitcnt lgkmcnt(1)
	v_mul_f64 v[4:5], v[186:187], v[84:85]
	v_fma_f64 v[12:13], v[152:153], v[78:79], -v[12:13]
	v_fma_f64 v[98:99], v[184:185], v[86:87], -v[4:5]
	s_waitcnt lgkmcnt(0)
	v_mul_f64 v[4:5], v[182:183], v[88:89]
	v_add_f64 v[6:7], v[0:1], v[14:15]
	v_mul_f64 v[18:19], v[162:163], v[62:63]
	v_mul_f64 v[22:23], v[158:159], v[10:11]
	;; [unrolled: 1-line block ×3, first 2 shown]
	v_fma_f64 v[90:91], v[180:181], v[90:91], -v[4:5]
	v_add_f64 v[4:5], v[40:41], v[0:1]
	v_fmac_f64_e32 v[40:41], -0.5, v[6:7]
	v_add_f64 v[6:7], v[12:13], -v[16:17]
	v_add_f64 v[10:11], v[12:13], v[16:17]
	v_fmac_f64_e32 v[18:19], v[160:161], v[60:61]
	v_fmac_f64_e32 v[22:23], v[156:157], v[8:9]
	v_fma_f64 v[8:9], s[0:1], v[6:7], v[40:41]
	v_fmac_f64_e32 v[40:41], s[2:3], v[6:7]
	v_add_f64 v[6:7], v[42:43], v[12:13]
	v_fmac_f64_e32 v[42:43], -0.5, v[10:11]
	v_add_f64 v[0:1], v[0:1], -v[14:15]
	v_fma_f64 v[10:11], s[2:3], v[0:1], v[42:43]
	v_fmac_f64_e32 v[42:43], s[0:1], v[0:1]
	v_add_f64 v[0:1], v[44:45], v[18:19]
	v_add_f64 v[60:61], v[0:1], v[22:23]
	v_add_f64 v[0:1], v[18:19], v[22:23]
	v_mul_f64 v[26:27], v[170:171], v[66:67]
	v_fmac_f64_e32 v[44:45], -0.5, v[0:1]
	v_add_f64 v[0:1], v[20:21], -v[24:25]
	v_fmac_f64_e32 v[26:27], v[168:169], v[64:65]
	v_fma_f64 v[64:65], s[0:1], v[0:1], v[44:45]
	v_fmac_f64_e32 v[44:45], s[2:3], v[0:1]
	v_add_f64 v[0:1], v[46:47], v[20:21]
	v_add_f64 v[62:63], v[0:1], v[24:25]
	v_add_f64 v[0:1], v[20:21], v[24:25]
	v_mul_f64 v[30:31], v[166:167], v[70:71]
	v_fmac_f64_e32 v[46:47], -0.5, v[0:1]
	v_add_f64 v[0:1], v[18:19], -v[22:23]
	v_fmac_f64_e32 v[30:31], v[164:165], v[68:69]
	;; [unrolled: 9-line block ×3, first 2 shown]
	v_fma_f64 v[72:73], s[0:1], v[0:1], v[48:49]
	v_fmac_f64_e32 v[48:49], s[2:3], v[0:1]
	v_add_f64 v[0:1], v[50:51], v[28:29]
	v_add_f64 v[70:71], v[0:1], v[32:33]
	;; [unrolled: 1-line block ×3, first 2 shown]
	v_fmac_f64_e32 v[34:35], v[176:177], v[80:81]
	v_fmac_f64_e32 v[50:51], -0.5, v[0:1]
	v_add_f64 v[0:1], v[26:27], -v[30:31]
	v_fma_f64 v[74:75], s[2:3], v[0:1], v[50:51]
	v_fmac_f64_e32 v[50:51], s[0:1], v[0:1]
	v_add_f64 v[0:1], v[52:53], v[34:35]
	v_add_f64 v[76:77], v[0:1], v[92:93]
	;; [unrolled: 1-line block ×3, first 2 shown]
	v_fmac_f64_e32 v[52:53], -0.5, v[0:1]
	v_add_f64 v[0:1], v[82:83], -v[94:95]
	v_fma_f64 v[80:81], s[0:1], v[0:1], v[52:53]
	v_fmac_f64_e32 v[52:53], s[2:3], v[0:1]
	v_add_f64 v[0:1], v[54:55], v[82:83]
	v_mul_f64 v[96:97], v[186:187], v[86:87]
	v_add_f64 v[78:79], v[0:1], v[94:95]
	v_add_f64 v[0:1], v[82:83], v[94:95]
	v_fmac_f64_e32 v[96:97], v[184:185], v[84:85]
	v_fmac_f64_e32 v[54:55], -0.5, v[0:1]
	v_add_f64 v[0:1], v[34:35], -v[92:93]
	v_fmac_f64_e32 v[100:101], v[180:181], v[88:89]
	v_fma_f64 v[82:83], s[2:3], v[0:1], v[54:55]
	v_fmac_f64_e32 v[54:55], s[0:1], v[0:1]
	v_add_f64 v[0:1], v[56:57], v[96:97]
	v_add_f64 v[84:85], v[0:1], v[100:101]
	;; [unrolled: 1-line block ×3, first 2 shown]
	v_fmac_f64_e32 v[56:57], -0.5, v[0:1]
	v_add_f64 v[0:1], v[98:99], -v[90:91]
	v_fma_f64 v[88:89], s[0:1], v[0:1], v[56:57]
	v_fmac_f64_e32 v[56:57], s[2:3], v[0:1]
	v_add_f64 v[0:1], v[58:59], v[98:99]
	v_add_f64 v[86:87], v[0:1], v[90:91]
	;; [unrolled: 1-line block ×3, first 2 shown]
	v_fmac_f64_e32 v[58:59], -0.5, v[0:1]
	v_add_f64 v[0:1], v[96:97], -v[100:101]
	v_add_f64 v[4:5], v[4:5], v[14:15]
	v_add_f64 v[6:7], v[6:7], v[16:17]
	v_fma_f64 v[90:91], s[2:3], v[0:1], v[58:59]
	v_fmac_f64_e32 v[58:59], s[0:1], v[0:1]
	v_accvgpr_read_b32 v0, a39
	ds_write_b128 v253, v[4:7]
	ds_write_b128 v2, v[8:11] offset:2400
	ds_write_b128 v2, v[40:43] offset:4800
	;; [unrolled: 1-line block ×14, first 2 shown]
	s_waitcnt lgkmcnt(0)
	s_barrier
	ds_read_b128 v[4:7], v253
	ds_read_b128 v[8:11], v253 offset:720
	v_mov_b32_e32 v192, v191
	v_accvgpr_read_b32 v15, a3
	v_mad_u64_u32 v[0:1], s[0:1], s7, v252, v[192:193]
	v_accvgpr_read_b32 v14, a2
	v_mov_b32_e32 v191, v0
	v_accvgpr_read_b32 v13, a1
	v_accvgpr_read_b32 v12, a0
	s_waitcnt lgkmcnt(1)
	v_mul_f64 v[0:1], v[14:15], v[6:7]
	s_mov_b32 s0, 0x789abcdf
	v_fmac_f64_e32 v[0:1], v[12:13], v[4:5]
	s_mov_b32 s1, 0x3f623456
	v_mul_f64 v[40:41], v[0:1], s[0:1]
	v_mul_f64 v[0:1], v[14:15], v[4:5]
	v_fma_f64 v[0:1], v[12:13], v[6:7], -v[0:1]
	v_mul_f64 v[42:43], v[0:1], s[0:1]
	v_mad_u64_u32 v[0:1], s[2:3], s4, v250, 0
	v_mov_b32_e32 v4, v1
	v_mad_u64_u32 v[4:5], s[2:3], s5, v250, v[4:5]
	v_accvgpr_read_b32 v12, a32
	v_mov_b32_e32 v1, v4
	v_lshl_add_u64 v[4:5], v[190:191], 4, v[188:189]
	v_accvgpr_read_b32 v14, a34
	v_accvgpr_read_b32 v15, a35
	v_lshl_add_u64 v[0:1], v[0:1], 4, v[4:5]
	v_accvgpr_read_b32 v13, a33
	s_waitcnt lgkmcnt(0)
	v_mul_f64 v[4:5], v[14:15], v[10:11]
	v_mul_f64 v[6:7], v[14:15], v[8:9]
	v_fmac_f64_e32 v[4:5], v[12:13], v[8:9]
	v_fma_f64 v[6:7], v[12:13], v[10:11], -v[6:7]
	s_mul_i32 s2, s5, 45
	s_mul_hi_u32 s3, s4, 45
	ds_read_b128 v[8:11], v253 offset:1440
	s_add_i32 s3, s3, s2
	s_mul_i32 s2, s4, 45
	s_lshl_b64 s[2:3], s[2:3], 4
	global_store_dwordx4 v[0:1], v[40:43], off
	v_mul_f64 v[4:5], v[4:5], s[0:1]
	v_mul_f64 v[6:7], v[6:7], s[0:1]
	v_lshl_add_u64 v[0:1], v[0:1], 0, s[2:3]
	v_accvgpr_read_b32 v17, a7
	global_store_dwordx4 v[0:1], v[4:7], off
	ds_read_b128 v[4:7], v253 offset:2160
	v_accvgpr_read_b32 v16, a6
	v_accvgpr_read_b32 v15, a5
	;; [unrolled: 1-line block ×3, first 2 shown]
	s_waitcnt lgkmcnt(1)
	v_mul_f64 v[12:13], v[16:17], v[10:11]
	v_fmac_f64_e32 v[12:13], v[14:15], v[8:9]
	v_mul_f64 v[8:9], v[16:17], v[8:9]
	v_mul_f64 v[32:33], v[12:13], s[0:1]
	v_fma_f64 v[8:9], v[14:15], v[10:11], -v[8:9]
	v_accvgpr_read_b32 v10, a20
	v_accvgpr_read_b32 v12, a22
	;; [unrolled: 1-line block ×3, first 2 shown]
	v_mul_f64 v[34:35], v[8:9], s[0:1]
	v_accvgpr_read_b32 v11, a21
	s_waitcnt lgkmcnt(0)
	v_mul_f64 v[8:9], v[12:13], v[6:7]
	v_fmac_f64_e32 v[8:9], v[10:11], v[4:5]
	v_mul_f64 v[4:5], v[12:13], v[4:5]
	v_fma_f64 v[10:11], v[10:11], v[6:7], -v[4:5]
	ds_read_b128 v[4:7], v253 offset:2880
	v_lshl_add_u64 v[0:1], v[0:1], 0, s[2:3]
	global_store_dwordx4 v[0:1], v[32:35], off
	v_mul_f64 v[8:9], v[8:9], s[0:1]
	v_mul_f64 v[10:11], v[10:11], s[0:1]
	v_lshl_add_u64 v[0:1], v[0:1], 0, s[2:3]
	global_store_dwordx4 v[0:1], v[8:11], off
	ds_read_b128 v[8:11], v253 offset:3600
	s_waitcnt lgkmcnt(1)
	v_mul_f64 v[12:13], v[38:39], v[6:7]
	v_fmac_f64_e32 v[12:13], v[36:37], v[4:5]
	v_mul_f64 v[20:21], v[12:13], s[0:1]
	v_mul_f64 v[4:5], v[38:39], v[4:5]
	v_accvgpr_read_b32 v12, a16
	v_fma_f64 v[4:5], v[36:37], v[6:7], -v[4:5]
	v_accvgpr_read_b32 v14, a18
	v_accvgpr_read_b32 v15, a19
	v_mul_f64 v[22:23], v[4:5], s[0:1]
	v_accvgpr_read_b32 v13, a17
	s_waitcnt lgkmcnt(0)
	v_mul_f64 v[4:5], v[14:15], v[10:11]
	v_mul_f64 v[6:7], v[14:15], v[8:9]
	v_fmac_f64_e32 v[4:5], v[12:13], v[8:9]
	v_fma_f64 v[6:7], v[12:13], v[10:11], -v[6:7]
	ds_read_b128 v[8:11], v253 offset:4320
	v_lshl_add_u64 v[0:1], v[0:1], 0, s[2:3]
	global_store_dwordx4 v[0:1], v[20:23], off
	v_mul_f64 v[4:5], v[4:5], s[0:1]
	v_mul_f64 v[6:7], v[6:7], s[0:1]
	v_lshl_add_u64 v[0:1], v[0:1], 0, s[2:3]
	v_accvgpr_read_b32 v21, a15
	global_store_dwordx4 v[0:1], v[4:7], off
	ds_read_b128 v[4:7], v253 offset:5040
	v_accvgpr_read_b32 v20, a14
	v_accvgpr_read_b32 v19, a13
	;; [unrolled: 1-line block ×3, first 2 shown]
	s_waitcnt lgkmcnt(1)
	v_mul_f64 v[12:13], v[20:21], v[10:11]
	v_fmac_f64_e32 v[12:13], v[18:19], v[8:9]
	v_mul_f64 v[8:9], v[20:21], v[8:9]
	v_mul_f64 v[16:17], v[12:13], s[0:1]
	v_fma_f64 v[8:9], v[18:19], v[10:11], -v[8:9]
	v_accvgpr_read_b32 v10, a28
	v_accvgpr_read_b32 v12, a30
	;; [unrolled: 1-line block ×3, first 2 shown]
	v_mul_f64 v[18:19], v[8:9], s[0:1]
	v_accvgpr_read_b32 v11, a29
	s_waitcnt lgkmcnt(0)
	v_mul_f64 v[8:9], v[12:13], v[6:7]
	v_fmac_f64_e32 v[8:9], v[10:11], v[4:5]
	v_mul_f64 v[4:5], v[12:13], v[4:5]
	v_fma_f64 v[10:11], v[10:11], v[6:7], -v[4:5]
	ds_read_b128 v[4:7], v253 offset:5760
	v_lshl_add_u64 v[0:1], v[0:1], 0, s[2:3]
	global_store_dwordx4 v[0:1], v[16:19], off
	v_mul_f64 v[8:9], v[8:9], s[0:1]
	v_mul_f64 v[10:11], v[10:11], s[0:1]
	v_accvgpr_read_b32 v17, a11
	v_lshl_add_u64 v[0:1], v[0:1], 0, s[2:3]
	v_accvgpr_read_b32 v16, a10
	global_store_dwordx4 v[0:1], v[8:11], off
	ds_read_b128 v[8:11], v253 offset:6480
	v_accvgpr_read_b32 v15, a9
	v_accvgpr_read_b32 v14, a8
	s_waitcnt lgkmcnt(1)
	v_mul_f64 v[12:13], v[16:17], v[6:7]
	v_fmac_f64_e32 v[12:13], v[14:15], v[4:5]
	v_mul_f64 v[4:5], v[16:17], v[4:5]
	v_fma_f64 v[4:5], v[14:15], v[6:7], -v[4:5]
	v_mul_f64 v[12:13], v[12:13], s[0:1]
	v_mul_f64 v[14:15], v[4:5], s[0:1]
	v_lshl_add_u64 v[0:1], v[0:1], 0, s[2:3]
	global_store_dwordx4 v[0:1], v[12:15], off
	v_lshl_add_u64 v[0:1], v[0:1], 0, s[2:3]
	s_nop 0
	v_accvgpr_read_b32 v12, a24
	v_accvgpr_read_b32 v14, a26
	;; [unrolled: 1-line block ×4, first 2 shown]
	s_waitcnt lgkmcnt(0)
	v_mul_f64 v[4:5], v[14:15], v[10:11]
	v_mul_f64 v[6:7], v[14:15], v[8:9]
	v_fmac_f64_e32 v[4:5], v[12:13], v[8:9]
	v_fma_f64 v[6:7], v[12:13], v[10:11], -v[6:7]
	v_mul_f64 v[4:5], v[4:5], s[0:1]
	v_mul_f64 v[6:7], v[6:7], s[0:1]
	global_store_dwordx4 v[0:1], v[4:7], off
	s_and_b64 exec, exec, vcc
	s_cbranch_execz .LBB0_15
; %bb.14:
	global_load_dwordx4 v[4:7], v[248:249], off offset:480
	ds_read_b128 v[8:11], v2 offset:480
	ds_read_b128 v[12:15], v2 offset:1920
	v_mov_b32_e32 v3, 0xffffe890
	s_mulk_i32 s5, 0xe890
	v_mad_u64_u32 v[16:17], s[6:7], s4, v3, v[0:1]
	s_sub_i32 s4, s5, s4
	v_add_u32_e32 v17, s4, v17
	s_movk_i32 s4, 0x1000
	s_waitcnt vmcnt(0) lgkmcnt(1)
	v_mul_f64 v[0:1], v[10:11], v[6:7]
	v_mul_f64 v[2:3], v[8:9], v[6:7]
	v_fmac_f64_e32 v[0:1], v[8:9], v[4:5]
	v_fma_f64 v[2:3], v[4:5], v[10:11], -v[2:3]
	v_mul_f64 v[0:1], v[0:1], s[0:1]
	v_mul_f64 v[2:3], v[2:3], s[0:1]
	global_store_dwordx4 v[16:17], v[0:3], off
	global_load_dwordx4 v[0:3], v[248:249], off offset:1200
	ds_read_b128 v[4:7], v253 offset:1200
	ds_read_b128 v[8:11], v253 offset:2640
	v_lshl_add_u64 v[16:17], v[16:17], 0, s[2:3]
	s_waitcnt vmcnt(0) lgkmcnt(1)
	v_mul_f64 v[18:19], v[6:7], v[2:3]
	v_mul_f64 v[2:3], v[4:5], v[2:3]
	v_fmac_f64_e32 v[18:19], v[4:5], v[0:1]
	v_fma_f64 v[2:3], v[0:1], v[6:7], -v[2:3]
	v_mul_f64 v[0:1], v[18:19], s[0:1]
	v_mul_f64 v[2:3], v[2:3], s[0:1]
	global_store_dwordx4 v[16:17], v[0:3], off
	global_load_dwordx4 v[0:3], v[248:249], off offset:1920
	v_lshl_add_u64 v[4:5], v[16:17], 0, s[2:3]
	s_waitcnt vmcnt(0)
	v_mul_f64 v[6:7], v[14:15], v[2:3]
	v_mul_f64 v[2:3], v[12:13], v[2:3]
	v_fmac_f64_e32 v[6:7], v[12:13], v[0:1]
	v_fma_f64 v[2:3], v[0:1], v[14:15], -v[2:3]
	v_mul_f64 v[0:1], v[6:7], s[0:1]
	v_mul_f64 v[2:3], v[2:3], s[0:1]
	global_store_dwordx4 v[4:5], v[0:3], off
	global_load_dwordx4 v[0:3], v[248:249], off offset:2640
	v_lshl_add_u64 v[12:13], v[4:5], 0, s[2:3]
	s_waitcnt vmcnt(0) lgkmcnt(0)
	v_mul_f64 v[4:5], v[10:11], v[2:3]
	v_mul_f64 v[2:3], v[8:9], v[2:3]
	v_fmac_f64_e32 v[4:5], v[8:9], v[0:1]
	v_fma_f64 v[2:3], v[0:1], v[10:11], -v[2:3]
	v_mul_f64 v[0:1], v[4:5], s[0:1]
	v_mul_f64 v[2:3], v[2:3], s[0:1]
	global_store_dwordx4 v[12:13], v[0:3], off
	global_load_dwordx4 v[0:3], v[248:249], off offset:3360
	ds_read_b128 v[4:7], v253 offset:3360
	ds_read_b128 v[8:11], v253 offset:4080
	v_lshl_add_u64 v[12:13], v[12:13], 0, s[2:3]
	s_waitcnt vmcnt(0) lgkmcnt(1)
	v_mul_f64 v[14:15], v[6:7], v[2:3]
	v_mul_f64 v[2:3], v[4:5], v[2:3]
	v_fmac_f64_e32 v[14:15], v[4:5], v[0:1]
	v_fma_f64 v[2:3], v[0:1], v[6:7], -v[2:3]
	v_mul_f64 v[0:1], v[14:15], s[0:1]
	v_mul_f64 v[2:3], v[2:3], s[0:1]
	global_store_dwordx4 v[12:13], v[0:3], off
	global_load_dwordx4 v[0:3], v[248:249], off offset:4080
	v_add_co_u32_e32 v14, vcc, s4, v248
	v_lshl_add_u64 v[12:13], v[12:13], 0, s[2:3]
	s_nop 0
	v_addc_co_u32_e32 v15, vcc, 0, v249, vcc
	s_waitcnt vmcnt(0) lgkmcnt(0)
	v_mul_f64 v[4:5], v[10:11], v[2:3]
	v_mul_f64 v[2:3], v[8:9], v[2:3]
	v_fmac_f64_e32 v[4:5], v[8:9], v[0:1]
	v_fma_f64 v[2:3], v[0:1], v[10:11], -v[2:3]
	v_mul_f64 v[0:1], v[4:5], s[0:1]
	v_mul_f64 v[2:3], v[2:3], s[0:1]
	global_store_dwordx4 v[12:13], v[0:3], off
	global_load_dwordx4 v[0:3], v[14:15], off offset:704
	ds_read_b128 v[4:7], v253 offset:4800
	ds_read_b128 v[8:11], v253 offset:5520
	v_lshl_add_u64 v[12:13], v[12:13], 0, s[2:3]
	s_waitcnt vmcnt(0) lgkmcnt(1)
	v_mul_f64 v[16:17], v[6:7], v[2:3]
	v_mul_f64 v[2:3], v[4:5], v[2:3]
	v_fmac_f64_e32 v[16:17], v[4:5], v[0:1]
	v_fma_f64 v[2:3], v[0:1], v[6:7], -v[2:3]
	v_mul_f64 v[0:1], v[16:17], s[0:1]
	v_mul_f64 v[2:3], v[2:3], s[0:1]
	global_store_dwordx4 v[12:13], v[0:3], off
	global_load_dwordx4 v[0:3], v[14:15], off offset:1424
	v_lshl_add_u64 v[12:13], v[12:13], 0, s[2:3]
	s_waitcnt vmcnt(0) lgkmcnt(0)
	v_mul_f64 v[4:5], v[10:11], v[2:3]
	v_mul_f64 v[2:3], v[8:9], v[2:3]
	v_fmac_f64_e32 v[4:5], v[8:9], v[0:1]
	v_fma_f64 v[2:3], v[0:1], v[10:11], -v[2:3]
	v_mul_f64 v[0:1], v[4:5], s[0:1]
	v_mul_f64 v[2:3], v[2:3], s[0:1]
	global_store_dwordx4 v[12:13], v[0:3], off
	global_load_dwordx4 v[0:3], v[14:15], off offset:2144
	ds_read_b128 v[4:7], v253 offset:6240
	ds_read_b128 v[8:11], v253 offset:6960
	v_lshl_add_u64 v[12:13], v[12:13], 0, s[2:3]
	s_waitcnt vmcnt(0) lgkmcnt(1)
	v_mul_f64 v[16:17], v[6:7], v[2:3]
	v_mul_f64 v[2:3], v[4:5], v[2:3]
	v_fmac_f64_e32 v[16:17], v[4:5], v[0:1]
	v_fma_f64 v[2:3], v[0:1], v[6:7], -v[2:3]
	v_mul_f64 v[0:1], v[16:17], s[0:1]
	v_mul_f64 v[2:3], v[2:3], s[0:1]
	global_store_dwordx4 v[12:13], v[0:3], off
	global_load_dwordx4 v[0:3], v[14:15], off offset:2864
	s_waitcnt vmcnt(0) lgkmcnt(0)
	v_mul_f64 v[4:5], v[10:11], v[2:3]
	v_mul_f64 v[2:3], v[8:9], v[2:3]
	v_fmac_f64_e32 v[4:5], v[8:9], v[0:1]
	v_fma_f64 v[2:3], v[0:1], v[10:11], -v[2:3]
	v_mul_f64 v[0:1], v[4:5], s[0:1]
	v_mul_f64 v[2:3], v[2:3], s[0:1]
	v_lshl_add_u64 v[4:5], v[12:13], 0, s[2:3]
	global_store_dwordx4 v[4:5], v[0:3], off
.LBB0_15:
	s_endpgm
	.section	.rodata,"a",@progbits
	.p2align	6, 0x0
	.amdhsa_kernel bluestein_single_fwd_len450_dim1_dp_op_CI_CI
		.amdhsa_group_segment_fixed_size 28800
		.amdhsa_private_segment_fixed_size 0
		.amdhsa_kernarg_size 104
		.amdhsa_user_sgpr_count 2
		.amdhsa_user_sgpr_dispatch_ptr 0
		.amdhsa_user_sgpr_queue_ptr 0
		.amdhsa_user_sgpr_kernarg_segment_ptr 1
		.amdhsa_user_sgpr_dispatch_id 0
		.amdhsa_user_sgpr_kernarg_preload_length 0
		.amdhsa_user_sgpr_kernarg_preload_offset 0
		.amdhsa_user_sgpr_private_segment_size 0
		.amdhsa_uses_dynamic_stack 0
		.amdhsa_enable_private_segment 0
		.amdhsa_system_sgpr_workgroup_id_x 1
		.amdhsa_system_sgpr_workgroup_id_y 0
		.amdhsa_system_sgpr_workgroup_id_z 0
		.amdhsa_system_sgpr_workgroup_info 0
		.amdhsa_system_vgpr_workitem_id 0
		.amdhsa_next_free_vgpr 296
		.amdhsa_next_free_sgpr 24
		.amdhsa_accum_offset 256
		.amdhsa_reserve_vcc 1
		.amdhsa_float_round_mode_32 0
		.amdhsa_float_round_mode_16_64 0
		.amdhsa_float_denorm_mode_32 3
		.amdhsa_float_denorm_mode_16_64 3
		.amdhsa_dx10_clamp 1
		.amdhsa_ieee_mode 1
		.amdhsa_fp16_overflow 0
		.amdhsa_tg_split 0
		.amdhsa_exception_fp_ieee_invalid_op 0
		.amdhsa_exception_fp_denorm_src 0
		.amdhsa_exception_fp_ieee_div_zero 0
		.amdhsa_exception_fp_ieee_overflow 0
		.amdhsa_exception_fp_ieee_underflow 0
		.amdhsa_exception_fp_ieee_inexact 0
		.amdhsa_exception_int_div_zero 0
	.end_amdhsa_kernel
	.text
.Lfunc_end0:
	.size	bluestein_single_fwd_len450_dim1_dp_op_CI_CI, .Lfunc_end0-bluestein_single_fwd_len450_dim1_dp_op_CI_CI
                                        ; -- End function
	.section	.AMDGPU.csdata,"",@progbits
; Kernel info:
; codeLenInByte = 18420
; NumSgprs: 30
; NumVgprs: 256
; NumAgprs: 40
; TotalNumVgprs: 296
; ScratchSize: 0
; MemoryBound: 0
; FloatMode: 240
; IeeeMode: 1
; LDSByteSize: 28800 bytes/workgroup (compile time only)
; SGPRBlocks: 3
; VGPRBlocks: 36
; NumSGPRsForWavesPerEU: 30
; NumVGPRsForWavesPerEU: 296
; AccumOffset: 256
; Occupancy: 1
; WaveLimiterHint : 1
; COMPUTE_PGM_RSRC2:SCRATCH_EN: 0
; COMPUTE_PGM_RSRC2:USER_SGPR: 2
; COMPUTE_PGM_RSRC2:TRAP_HANDLER: 0
; COMPUTE_PGM_RSRC2:TGID_X_EN: 1
; COMPUTE_PGM_RSRC2:TGID_Y_EN: 0
; COMPUTE_PGM_RSRC2:TGID_Z_EN: 0
; COMPUTE_PGM_RSRC2:TIDIG_COMP_CNT: 0
; COMPUTE_PGM_RSRC3_GFX90A:ACCUM_OFFSET: 63
; COMPUTE_PGM_RSRC3_GFX90A:TG_SPLIT: 0
	.text
	.p2alignl 6, 3212836864
	.fill 256, 4, 3212836864
	.type	__hip_cuid_6f39e7f338917f6a,@object ; @__hip_cuid_6f39e7f338917f6a
	.section	.bss,"aw",@nobits
	.globl	__hip_cuid_6f39e7f338917f6a
__hip_cuid_6f39e7f338917f6a:
	.byte	0                               ; 0x0
	.size	__hip_cuid_6f39e7f338917f6a, 1

	.ident	"AMD clang version 19.0.0git (https://github.com/RadeonOpenCompute/llvm-project roc-6.4.0 25133 c7fe45cf4b819c5991fe208aaa96edf142730f1d)"
	.section	".note.GNU-stack","",@progbits
	.addrsig
	.addrsig_sym __hip_cuid_6f39e7f338917f6a
	.amdgpu_metadata
---
amdhsa.kernels:
  - .agpr_count:     40
    .args:
      - .actual_access:  read_only
        .address_space:  global
        .offset:         0
        .size:           8
        .value_kind:     global_buffer
      - .actual_access:  read_only
        .address_space:  global
        .offset:         8
        .size:           8
        .value_kind:     global_buffer
      - .actual_access:  read_only
        .address_space:  global
        .offset:         16
        .size:           8
        .value_kind:     global_buffer
      - .actual_access:  read_only
        .address_space:  global
        .offset:         24
        .size:           8
        .value_kind:     global_buffer
      - .actual_access:  read_only
        .address_space:  global
        .offset:         32
        .size:           8
        .value_kind:     global_buffer
      - .offset:         40
        .size:           8
        .value_kind:     by_value
      - .address_space:  global
        .offset:         48
        .size:           8
        .value_kind:     global_buffer
      - .address_space:  global
        .offset:         56
        .size:           8
        .value_kind:     global_buffer
      - .address_space:  global
        .offset:         64
        .size:           8
        .value_kind:     global_buffer
      - .address_space:  global
        .offset:         72
        .size:           8
        .value_kind:     global_buffer
      - .offset:         80
        .size:           4
        .value_kind:     by_value
      - .address_space:  global
        .offset:         88
        .size:           8
        .value_kind:     global_buffer
      - .address_space:  global
        .offset:         96
        .size:           8
        .value_kind:     global_buffer
    .group_segment_fixed_size: 28800
    .kernarg_segment_align: 8
    .kernarg_segment_size: 104
    .language:       OpenCL C
    .language_version:
      - 2
      - 0
    .max_flat_workgroup_size: 120
    .name:           bluestein_single_fwd_len450_dim1_dp_op_CI_CI
    .private_segment_fixed_size: 0
    .sgpr_count:     30
    .sgpr_spill_count: 0
    .symbol:         bluestein_single_fwd_len450_dim1_dp_op_CI_CI.kd
    .uniform_work_group_size: 1
    .uses_dynamic_stack: false
    .vgpr_count:     296
    .vgpr_spill_count: 0
    .wavefront_size: 64
amdhsa.target:   amdgcn-amd-amdhsa--gfx950
amdhsa.version:
  - 1
  - 2
...

	.end_amdgpu_metadata
